;; amdgpu-corpus repo=ROCm/rocSOLVER kind=compiled arch=gfx906 opt=O3
	.amdgcn_target "amdgcn-amd-amdhsa--gfx906"
	.amdhsa_code_object_version 6
	.section	.text._ZN9rocsolver6v33100L22larf_left_kernel_smallILi64E19rocblas_complex_numIdEiPS3_EEvT1_S5_T2_lS5_lPKT0_lS6_lS5_l,"axG",@progbits,_ZN9rocsolver6v33100L22larf_left_kernel_smallILi64E19rocblas_complex_numIdEiPS3_EEvT1_S5_T2_lS5_lPKT0_lS6_lS5_l,comdat
	.globl	_ZN9rocsolver6v33100L22larf_left_kernel_smallILi64E19rocblas_complex_numIdEiPS3_EEvT1_S5_T2_lS5_lPKT0_lS6_lS5_l ; -- Begin function _ZN9rocsolver6v33100L22larf_left_kernel_smallILi64E19rocblas_complex_numIdEiPS3_EEvT1_S5_T2_lS5_lPKT0_lS6_lS5_l
	.p2align	8
	.type	_ZN9rocsolver6v33100L22larf_left_kernel_smallILi64E19rocblas_complex_numIdEiPS3_EEvT1_S5_T2_lS5_lPKT0_lS6_lS5_l,@function
_ZN9rocsolver6v33100L22larf_left_kernel_smallILi64E19rocblas_complex_numIdEiPS3_EEvT1_S5_T2_lS5_lPKT0_lS6_lS5_l: ; @_ZN9rocsolver6v33100L22larf_left_kernel_smallILi64E19rocblas_complex_numIdEiPS3_EEvT1_S5_T2_lS5_lPKT0_lS6_lS5_l
; %bb.0:
	s_load_dwordx2 s[16:17], s[4:5], 0x0
	s_load_dwordx8 s[8:15], s[4:5], 0x20
	s_load_dwordx2 s[2:3], s[4:5], 0x40
	s_ashr_i32 s20, s6, 31
	v_lshlrev_b32_e32 v11, 4, v0
	s_waitcnt lgkmcnt(0)
	v_cmp_gt_i32_e64 s[0:1], s16, v0
	s_and_saveexec_b64 s[18:19], s[0:1]
	s_cbranch_execz .LBB0_3
; %bb.1:
	s_load_dwordx4 s[24:27], s[4:5], 0x8
	s_load_dword s22, s[4:5], 0x18
	s_mul_i32 s21, s8, s20
	s_mul_hi_u32 s23, s8, s6
	s_add_i32 s21, s23, s21
	s_mul_i32 s9, s9, s6
	s_add_i32 s9, s21, s9
	s_mul_i32 s8, s8, s6
	s_lshl_b64 s[8:9], s[8:9], 4
	s_waitcnt lgkmcnt(0)
	s_add_u32 s21, s24, s8
	s_addc_u32 s23, s25, s9
	s_lshl_b64 s[8:9], s[26:27], 4
	s_add_u32 s21, s21, s8
	v_mul_lo_u32 v1, v0, s22
	s_addc_u32 s23, s23, s9
	s_sub_i32 s8, 1, s16
	s_mul_i32 s8, s22, s8
	s_cmp_lt_i32 s22, 1
	s_cselect_b32 s8, s8, 0
	v_add_u32_e32 v1, s8, v1
	s_lshl_b32 s22, s22, 6
	v_lshlrev_b32_e32 v3, 4, v0
	s_mov_b64 s[8:9], 0
	v_mov_b32_e32 v4, s23
	v_mov_b32_e32 v5, v0
.LBB0_2:                                ; =>This Inner Loop Header: Depth=1
	v_ashrrev_i32_e32 v2, 31, v1
	v_lshlrev_b64 v[6:7], 4, v[1:2]
	v_add_u32_e32 v5, 64, v5
	v_add_co_u32_e32 v6, vcc, s21, v6
	v_addc_co_u32_e32 v7, vcc, v4, v7, vcc
	global_load_dwordx4 v[6:9], v[6:7], off
	v_cmp_le_i32_e32 vcc, s16, v5
	v_add_u32_e32 v1, s22, v1
	s_or_b64 s[8:9], vcc, s[8:9]
	s_waitcnt vmcnt(0)
	ds_write2_b64 v3, v[6:7], v[8:9] offset1:1
	v_add_u32_e32 v3, 0x400, v3
	s_andn2_b64 exec, exec, s[8:9]
	s_cbranch_execnz .LBB0_2
.LBB0_3:
	s_or_b64 exec, exec, s[18:19]
	s_cmp_ge_i32 s7, s17
	s_waitcnt lgkmcnt(0)
	; wave barrier
	s_cbranch_scc1 .LBB0_21
; %bb.4:
	s_load_dword s21, s[4:5], 0x48
	s_load_dwordx2 s[18:19], s[4:5], 0x50
	s_mul_i32 s4, s12, s20
	s_mul_hi_u32 s5, s12, s6
	s_add_i32 s4, s5, s4
	s_mul_i32 s5, s13, s6
	s_add_i32 s5, s4, s5
	s_mul_i32 s4, s12, s6
	s_lshl_b64 s[4:5], s[4:5], 4
	s_add_u32 s4, s10, s4
	s_addc_u32 s5, s11, s5
	s_cmp_gt_i32 s16, 1
	s_waitcnt lgkmcnt(0)
	s_mul_i32 s12, s18, s20
	s_mul_hi_u32 s13, s18, s6
	s_cselect_b64 s[8:9], -1, 0
	s_add_i32 s12, s13, s12
	s_mul_i32 s13, s19, s6
	s_add_i32 s13, s12, s13
	s_mul_i32 s12, s18, s6
	s_lshl_b64 s[12:13], s[12:13], 4
	s_lshl_b64 s[2:3], s[2:3], 4
	s_add_u32 s2, s12, s2
	s_addc_u32 s3, s13, s3
	s_add_u32 s2, s14, s2
	s_addc_u32 s3, s15, s3
	v_lshrrev_b32_e32 v1, 2, v0
	v_mov_b32_e32 v2, s3
	v_add_co_u32_e32 v3, vcc, s2, v11
	v_addc_co_u32_e32 v2, vcc, 0, v2, vcc
	v_or_b32_e32 v15, 0x8000, v1
	v_mbcnt_lo_u32_b32 v1, -1, 0
	v_add_co_u32_e32 v13, vcc, 8, v3
	v_mbcnt_hi_u32_b32 v16, -1, v1
	v_mov_b32_e32 v1, 0x80
	v_cmp_eq_u32_e64 s[10:11], 0, v0
	v_mov_b32_e32 v12, 0
	v_addc_co_u32_e32 v14, vcc, 0, v2, vcc
	s_mul_i32 s12, s7, s21
	s_lshl_b32 s6, s21, 6
	v_and_b32_e32 v17, 63, v16
	v_lshl_or_b32 v18, v16, 2, v1
	s_branch .LBB0_6
.LBB0_5:                                ;   in Loop: Header=BB0_6 Depth=1
	s_or_b64 exec, exec, s[2:3]
	s_add_i32 s7, s7, 64
	s_add_i32 s12, s12, s6
	s_cmp_ge_i32 s7, s17
	s_cbranch_scc1 .LBB0_21
.LBB0_6:                                ; =>This Loop Header: Depth=1
                                        ;     Child Loop BB0_8 Depth 2
                                        ;     Child Loop BB0_20 Depth 2
	s_ashr_i32 s13, s12, 31
	s_lshl_b64 s[2:3], s[12:13], 4
	v_mov_b32_e32 v6, s3
	v_mov_b32_e32 v3, 0
	;; [unrolled: 1-line block ×3, first 2 shown]
	v_add_co_u32_e32 v5, vcc, s2, v13
	v_mov_b32_e32 v4, 0
	v_mov_b32_e32 v2, 0
	v_addc_co_u32_e32 v6, vcc, v14, v6, vcc
	s_and_saveexec_b64 s[14:15], s[0:1]
	s_cbranch_execz .LBB0_10
; %bb.7:                                ;   in Loop: Header=BB0_6 Depth=1
	v_mov_b32_e32 v3, 0
	v_mov_b32_e32 v8, v6
	v_mov_b32_e32 v1, 0
	v_mov_b32_e32 v4, 0
	s_mov_b64 s[18:19], 0
	v_mov_b32_e32 v7, v5
	v_mov_b32_e32 v9, v11
	;; [unrolled: 1-line block ×4, first 2 shown]
.LBB0_8:                                ;   Parent Loop BB0_6 Depth=1
                                        ; =>  This Inner Loop Header: Depth=2
	global_load_dwordx4 v[19:22], v[7:8], off offset:-8
	ds_read_b128 v[23:26], v9
	v_add_u32_e32 v10, 64, v10
	v_add_co_u32_e32 v7, vcc, 0x400, v7
	v_cmp_le_i32_e64 s[2:3], s16, v10
	v_add_u32_e32 v9, 0x400, v9
	s_or_b64 s[18:19], s[2:3], s[18:19]
	v_addc_co_u32_e32 v8, vcc, 0, v8, vcc
	s_waitcnt vmcnt(0) lgkmcnt(0)
	v_mul_f64 v[27:28], v[21:22], v[25:26]
	v_mul_f64 v[21:22], v[21:22], v[23:24]
	v_fma_f64 v[23:24], v[19:20], v[23:24], v[27:28]
	v_fma_f64 v[19:20], v[19:20], v[25:26], -v[21:22]
	v_add_f64 v[1:2], v[1:2], v[23:24]
	v_add_f64 v[3:4], v[3:4], v[19:20]
	s_andn2_b64 exec, exec, s[18:19]
	s_cbranch_execnz .LBB0_8
; %bb.9:                                ;   in Loop: Header=BB0_6 Depth=1
	s_or_b64 exec, exec, s[18:19]
.LBB0_10:                               ;   in Loop: Header=BB0_6 Depth=1
	s_or_b64 exec, exec, s[14:15]
	s_and_b64 vcc, exec, s[8:9]
	s_cbranch_vccz .LBB0_15
; %bb.11:                               ;   in Loop: Header=BB0_6 Depth=1
	v_cmp_ne_u32_e32 vcc, 63, v17
	v_addc_co_u32_e32 v7, vcc, 0, v16, vcc
	v_lshlrev_b32_e32 v10, 2, v7
	ds_bpermute_b32 v7, v10, v1
	ds_bpermute_b32 v8, v10, v2
	;; [unrolled: 1-line block ×4, first 2 shown]
	v_cmp_gt_u32_e32 vcc, 62, v17
	v_cndmask_b32_e64 v19, 0, 2, vcc
	s_waitcnt lgkmcnt(2)
	v_add_f64 v[7:8], v[1:2], v[7:8]
	v_add_lshl_u32 v22, v19, v16, 2
	s_waitcnt lgkmcnt(0)
	v_add_f64 v[9:10], v[3:4], v[9:10]
	v_cmp_gt_u32_e32 vcc, 60, v17
	ds_bpermute_b32 v19, v22, v7
	ds_bpermute_b32 v20, v22, v8
	ds_bpermute_b32 v21, v22, v9
	ds_bpermute_b32 v22, v22, v10
	s_waitcnt lgkmcnt(2)
	v_add_f64 v[7:8], v[7:8], v[19:20]
	v_cndmask_b32_e64 v19, 0, 4, vcc
	s_waitcnt lgkmcnt(0)
	v_add_f64 v[9:10], v[9:10], v[21:22]
	v_add_lshl_u32 v22, v19, v16, 2
	v_cmp_gt_u32_e32 vcc, 56, v17
	ds_bpermute_b32 v19, v22, v7
	ds_bpermute_b32 v20, v22, v8
	ds_bpermute_b32 v21, v22, v9
	ds_bpermute_b32 v22, v22, v10
	s_waitcnt lgkmcnt(2)
	v_add_f64 v[7:8], v[7:8], v[19:20]
	v_cndmask_b32_e64 v19, 0, 8, vcc
	s_waitcnt lgkmcnt(0)
	v_add_f64 v[9:10], v[9:10], v[21:22]
	v_add_lshl_u32 v22, v19, v16, 2
	v_cmp_gt_u32_e32 vcc, 48, v17
	ds_bpermute_b32 v19, v22, v7
	ds_bpermute_b32 v20, v22, v8
	ds_bpermute_b32 v21, v22, v9
	ds_bpermute_b32 v22, v22, v10
	s_waitcnt lgkmcnt(2)
	v_add_f64 v[7:8], v[7:8], v[19:20]
	v_cndmask_b32_e64 v19, 0, 16, vcc
	s_waitcnt lgkmcnt(0)
	v_add_f64 v[9:10], v[9:10], v[21:22]
	v_add_lshl_u32 v22, v19, v16, 2
	ds_bpermute_b32 v19, v22, v7
	ds_bpermute_b32 v20, v22, v8
	ds_bpermute_b32 v21, v22, v9
	ds_bpermute_b32 v22, v22, v10
	s_waitcnt lgkmcnt(2)
	v_add_f64 v[7:8], v[7:8], v[19:20]
	s_waitcnt lgkmcnt(0)
	v_add_f64 v[9:10], v[9:10], v[21:22]
	ds_bpermute_b32 v19, v18, v7
	ds_bpermute_b32 v20, v18, v8
	;; [unrolled: 1-line block ×4, first 2 shown]
	s_waitcnt lgkmcnt(2)
	v_add_f64 v[7:8], v[7:8], v[19:20]
	s_waitcnt lgkmcnt(0)
	v_add_f64 v[9:10], v[9:10], v[21:22]
	s_and_saveexec_b64 s[2:3], s[10:11]
; %bb.12:                               ;   in Loop: Header=BB0_6 Depth=1
	ds_write2_b64 v15, v[7:8], v[9:10] offset1:1
; %bb.13:                               ;   in Loop: Header=BB0_6 Depth=1
	s_or_b64 exec, exec, s[2:3]
	s_waitcnt lgkmcnt(0)
	; wave barrier
	s_mov_b64 s[2:3], s[10:11]
.LBB0_14:                               ;   in Loop: Header=BB0_6 Depth=1
	v_mov_b32_e32 v3, v9
	v_mov_b32_e32 v1, v7
	;; [unrolled: 1-line block ×4, first 2 shown]
	s_and_saveexec_b64 s[14:15], s[2:3]
	s_cbranch_execnz .LBB0_17
	s_branch .LBB0_18
.LBB0_15:                               ;   in Loop: Header=BB0_6 Depth=1
	s_mov_b64 s[2:3], 0
                                        ; implicit-def: $vgpr9_vgpr10
                                        ; implicit-def: $vgpr7_vgpr8
	s_cbranch_execz .LBB0_14
; %bb.16:                               ;   in Loop: Header=BB0_6 Depth=1
	s_andn2_b64 s[2:3], s[2:3], exec
	s_and_b64 s[14:15], s[10:11], exec
	s_or_b64 s[2:3], s[2:3], s[14:15]
	s_and_saveexec_b64 s[14:15], s[2:3]
.LBB0_17:                               ;   in Loop: Header=BB0_6 Depth=1
	ds_write_b128 v12, v[1:4] offset:32768
.LBB0_18:                               ;   in Loop: Header=BB0_6 Depth=1
	s_or_b64 exec, exec, s[14:15]
	s_waitcnt lgkmcnt(0)
	; wave barrier
	s_and_saveexec_b64 s[2:3], s[0:1]
	s_cbranch_execz .LBB0_5
; %bb.19:                               ;   in Loop: Header=BB0_6 Depth=1
	global_load_dwordx4 v[7:10], v12, s[4:5]
	ds_read_b128 v[1:4], v12 offset:32768
	s_mov_b64 s[14:15], 0
	s_waitcnt vmcnt(0) lgkmcnt(0)
	v_mul_f64 v[19:20], v[9:10], v[3:4]
	v_mul_f64 v[9:10], v[9:10], v[1:2]
	v_fma_f64 v[1:2], v[1:2], -v[7:8], -v[19:20]
	v_fma_f64 v[3:4], v[7:8], v[3:4], -v[9:10]
	v_mov_b32_e32 v7, v11
	v_mov_b32_e32 v8, v0
.LBB0_20:                               ;   Parent Loop BB0_6 Depth=1
                                        ; =>  This Inner Loop Header: Depth=2
	global_load_dwordx4 v[19:22], v[5:6], off offset:-8
	ds_read_b128 v[23:26], v7
	v_add_u32_e32 v8, 64, v8
	v_cmp_le_i32_e32 vcc, s16, v8
	s_or_b64 s[14:15], vcc, s[14:15]
	v_add_u32_e32 v7, 0x400, v7
	s_waitcnt lgkmcnt(0)
	v_mul_f64 v[9:10], v[3:4], v[25:26]
	v_mul_f64 v[25:26], v[1:2], v[25:26]
	v_fma_f64 v[9:10], v[1:2], v[23:24], -v[9:10]
	v_fma_f64 v[23:24], v[3:4], v[23:24], v[25:26]
	s_waitcnt vmcnt(0)
	v_add_f64 v[19:20], v[19:20], v[9:10]
	v_add_f64 v[21:22], v[23:24], v[21:22]
	global_store_dwordx4 v[5:6], v[19:22], off offset:-8
	v_add_co_u32_e32 v5, vcc, 0x400, v5
	v_addc_co_u32_e32 v6, vcc, 0, v6, vcc
	s_andn2_b64 exec, exec, s[14:15]
	s_cbranch_execnz .LBB0_20
	s_branch .LBB0_5
.LBB0_21:
	s_endpgm
	.section	.rodata,"a",@progbits
	.p2align	6, 0x0
	.amdhsa_kernel _ZN9rocsolver6v33100L22larf_left_kernel_smallILi64E19rocblas_complex_numIdEiPS3_EEvT1_S5_T2_lS5_lPKT0_lS6_lS5_l
		.amdhsa_group_segment_fixed_size 33792
		.amdhsa_private_segment_fixed_size 0
		.amdhsa_kernarg_size 88
		.amdhsa_user_sgpr_count 6
		.amdhsa_user_sgpr_private_segment_buffer 1
		.amdhsa_user_sgpr_dispatch_ptr 0
		.amdhsa_user_sgpr_queue_ptr 0
		.amdhsa_user_sgpr_kernarg_segment_ptr 1
		.amdhsa_user_sgpr_dispatch_id 0
		.amdhsa_user_sgpr_flat_scratch_init 0
		.amdhsa_user_sgpr_private_segment_size 0
		.amdhsa_uses_dynamic_stack 0
		.amdhsa_system_sgpr_private_segment_wavefront_offset 0
		.amdhsa_system_sgpr_workgroup_id_x 1
		.amdhsa_system_sgpr_workgroup_id_y 1
		.amdhsa_system_sgpr_workgroup_id_z 0
		.amdhsa_system_sgpr_workgroup_info 0
		.amdhsa_system_vgpr_workitem_id 0
		.amdhsa_next_free_vgpr 129
		.amdhsa_next_free_sgpr 98
		.amdhsa_reserve_vcc 1
		.amdhsa_reserve_flat_scratch 0
		.amdhsa_float_round_mode_32 0
		.amdhsa_float_round_mode_16_64 0
		.amdhsa_float_denorm_mode_32 3
		.amdhsa_float_denorm_mode_16_64 3
		.amdhsa_dx10_clamp 1
		.amdhsa_ieee_mode 1
		.amdhsa_fp16_overflow 0
		.amdhsa_exception_fp_ieee_invalid_op 0
		.amdhsa_exception_fp_denorm_src 0
		.amdhsa_exception_fp_ieee_div_zero 0
		.amdhsa_exception_fp_ieee_overflow 0
		.amdhsa_exception_fp_ieee_underflow 0
		.amdhsa_exception_fp_ieee_inexact 0
		.amdhsa_exception_int_div_zero 0
	.end_amdhsa_kernel
	.section	.text._ZN9rocsolver6v33100L22larf_left_kernel_smallILi64E19rocblas_complex_numIdEiPS3_EEvT1_S5_T2_lS5_lPKT0_lS6_lS5_l,"axG",@progbits,_ZN9rocsolver6v33100L22larf_left_kernel_smallILi64E19rocblas_complex_numIdEiPS3_EEvT1_S5_T2_lS5_lPKT0_lS6_lS5_l,comdat
.Lfunc_end0:
	.size	_ZN9rocsolver6v33100L22larf_left_kernel_smallILi64E19rocblas_complex_numIdEiPS3_EEvT1_S5_T2_lS5_lPKT0_lS6_lS5_l, .Lfunc_end0-_ZN9rocsolver6v33100L22larf_left_kernel_smallILi64E19rocblas_complex_numIdEiPS3_EEvT1_S5_T2_lS5_lPKT0_lS6_lS5_l
                                        ; -- End function
	.set _ZN9rocsolver6v33100L22larf_left_kernel_smallILi64E19rocblas_complex_numIdEiPS3_EEvT1_S5_T2_lS5_lPKT0_lS6_lS5_l.num_vgpr, 29
	.set _ZN9rocsolver6v33100L22larf_left_kernel_smallILi64E19rocblas_complex_numIdEiPS3_EEvT1_S5_T2_lS5_lPKT0_lS6_lS5_l.num_agpr, 0
	.set _ZN9rocsolver6v33100L22larf_left_kernel_smallILi64E19rocblas_complex_numIdEiPS3_EEvT1_S5_T2_lS5_lPKT0_lS6_lS5_l.numbered_sgpr, 28
	.set _ZN9rocsolver6v33100L22larf_left_kernel_smallILi64E19rocblas_complex_numIdEiPS3_EEvT1_S5_T2_lS5_lPKT0_lS6_lS5_l.num_named_barrier, 0
	.set _ZN9rocsolver6v33100L22larf_left_kernel_smallILi64E19rocblas_complex_numIdEiPS3_EEvT1_S5_T2_lS5_lPKT0_lS6_lS5_l.private_seg_size, 0
	.set _ZN9rocsolver6v33100L22larf_left_kernel_smallILi64E19rocblas_complex_numIdEiPS3_EEvT1_S5_T2_lS5_lPKT0_lS6_lS5_l.uses_vcc, 1
	.set _ZN9rocsolver6v33100L22larf_left_kernel_smallILi64E19rocblas_complex_numIdEiPS3_EEvT1_S5_T2_lS5_lPKT0_lS6_lS5_l.uses_flat_scratch, 0
	.set _ZN9rocsolver6v33100L22larf_left_kernel_smallILi64E19rocblas_complex_numIdEiPS3_EEvT1_S5_T2_lS5_lPKT0_lS6_lS5_l.has_dyn_sized_stack, 0
	.set _ZN9rocsolver6v33100L22larf_left_kernel_smallILi64E19rocblas_complex_numIdEiPS3_EEvT1_S5_T2_lS5_lPKT0_lS6_lS5_l.has_recursion, 0
	.set _ZN9rocsolver6v33100L22larf_left_kernel_smallILi64E19rocblas_complex_numIdEiPS3_EEvT1_S5_T2_lS5_lPKT0_lS6_lS5_l.has_indirect_call, 0
	.section	.AMDGPU.csdata,"",@progbits
; Kernel info:
; codeLenInByte = 1408
; TotalNumSgprs: 32
; NumVgprs: 29
; ScratchSize: 0
; MemoryBound: 0
; FloatMode: 240
; IeeeMode: 1
; LDSByteSize: 33792 bytes/workgroup (compile time only)
; SGPRBlocks: 12
; VGPRBlocks: 32
; NumSGPRsForWavesPerEU: 102
; NumVGPRsForWavesPerEU: 129
; Occupancy: 1
; WaveLimiterHint : 0
; COMPUTE_PGM_RSRC2:SCRATCH_EN: 0
; COMPUTE_PGM_RSRC2:USER_SGPR: 6
; COMPUTE_PGM_RSRC2:TRAP_HANDLER: 0
; COMPUTE_PGM_RSRC2:TGID_X_EN: 1
; COMPUTE_PGM_RSRC2:TGID_Y_EN: 1
; COMPUTE_PGM_RSRC2:TGID_Z_EN: 0
; COMPUTE_PGM_RSRC2:TIDIG_COMP_CNT: 0
	.section	.text._ZN9rocsolver6v33100L22larf_left_kernel_smallILi128E19rocblas_complex_numIdEiPS3_EEvT1_S5_T2_lS5_lPKT0_lS6_lS5_l,"axG",@progbits,_ZN9rocsolver6v33100L22larf_left_kernel_smallILi128E19rocblas_complex_numIdEiPS3_EEvT1_S5_T2_lS5_lPKT0_lS6_lS5_l,comdat
	.globl	_ZN9rocsolver6v33100L22larf_left_kernel_smallILi128E19rocblas_complex_numIdEiPS3_EEvT1_S5_T2_lS5_lPKT0_lS6_lS5_l ; -- Begin function _ZN9rocsolver6v33100L22larf_left_kernel_smallILi128E19rocblas_complex_numIdEiPS3_EEvT1_S5_T2_lS5_lPKT0_lS6_lS5_l
	.p2align	8
	.type	_ZN9rocsolver6v33100L22larf_left_kernel_smallILi128E19rocblas_complex_numIdEiPS3_EEvT1_S5_T2_lS5_lPKT0_lS6_lS5_l,@function
_ZN9rocsolver6v33100L22larf_left_kernel_smallILi128E19rocblas_complex_numIdEiPS3_EEvT1_S5_T2_lS5_lPKT0_lS6_lS5_l: ; @_ZN9rocsolver6v33100L22larf_left_kernel_smallILi128E19rocblas_complex_numIdEiPS3_EEvT1_S5_T2_lS5_lPKT0_lS6_lS5_l
; %bb.0:
	s_load_dwordx2 s[16:17], s[4:5], 0x0
	s_load_dwordx8 s[8:15], s[4:5], 0x20
	s_load_dwordx2 s[18:19], s[4:5], 0x40
	s_ashr_i32 s20, s6, 31
	v_lshlrev_b32_e32 v15, 4, v0
	s_waitcnt lgkmcnt(0)
	v_cmp_gt_i32_e64 s[0:1], s16, v0
	s_and_saveexec_b64 s[2:3], s[0:1]
	s_cbranch_execz .LBB1_3
; %bb.1:
	s_load_dwordx4 s[24:27], s[4:5], 0x8
	s_load_dword s22, s[4:5], 0x18
	s_mul_i32 s21, s8, s20
	s_mul_hi_u32 s23, s8, s6
	s_add_i32 s21, s23, s21
	s_mul_i32 s9, s9, s6
	s_add_i32 s9, s21, s9
	s_mul_i32 s8, s8, s6
	s_lshl_b64 s[8:9], s[8:9], 4
	s_waitcnt lgkmcnt(0)
	s_add_u32 s21, s24, s8
	s_addc_u32 s23, s25, s9
	s_lshl_b64 s[8:9], s[26:27], 4
	s_add_u32 s21, s21, s8
	v_mul_lo_u32 v1, v0, s22
	s_addc_u32 s23, s23, s9
	s_sub_i32 s8, 1, s16
	s_mul_i32 s8, s22, s8
	s_cmp_lt_i32 s22, 1
	s_cselect_b32 s8, s8, 0
	v_add_u32_e32 v1, s8, v1
	s_lshl_b32 s22, s22, 7
	v_lshlrev_b32_e32 v3, 4, v0
	s_mov_b64 s[8:9], 0
	v_mov_b32_e32 v4, s23
	v_mov_b32_e32 v5, v0
.LBB1_2:                                ; =>This Inner Loop Header: Depth=1
	v_ashrrev_i32_e32 v2, 31, v1
	v_lshlrev_b64 v[6:7], 4, v[1:2]
	v_add_u32_e32 v5, 0x80, v5
	v_add_co_u32_e32 v6, vcc, s21, v6
	v_addc_co_u32_e32 v7, vcc, v4, v7, vcc
	global_load_dwordx4 v[6:9], v[6:7], off
	v_cmp_le_i32_e32 vcc, s16, v5
	v_add_u32_e32 v1, s22, v1
	s_or_b64 s[8:9], vcc, s[8:9]
	s_waitcnt vmcnt(0)
	ds_write2_b64 v3, v[6:7], v[8:9] offset1:1
	v_add_u32_e32 v3, 0x800, v3
	s_andn2_b64 exec, exec, s[8:9]
	s_cbranch_execnz .LBB1_2
.LBB1_3:
	s_or_b64 exec, exec, s[2:3]
	s_cmp_ge_i32 s7, s17
	s_waitcnt lgkmcnt(0)
	s_barrier
	s_cbranch_scc1 .LBB1_23
; %bb.4:
	s_mul_i32 s2, s12, s20
	s_mul_hi_u32 s3, s12, s6
	s_load_dword s21, s[4:5], 0x48
	s_load_dwordx2 s[8:9], s[4:5], 0x50
	s_add_i32 s2, s3, s2
	s_mul_i32 s3, s13, s6
	s_add_i32 s3, s2, s3
	s_mul_i32 s2, s12, s6
	s_lshl_b64 s[2:3], s[2:3], 4
	s_add_u32 s10, s10, s2
	s_addc_u32 s11, s11, s3
	s_cmp_gt_i32 s16, 1
	s_waitcnt lgkmcnt(0)
	s_mul_i32 s20, s8, s20
	s_mul_hi_u32 s22, s8, s6
	s_cselect_b64 s[12:13], -1, 0
	s_add_i32 s20, s22, s20
	s_mul_i32 s9, s9, s6
	s_add_i32 s9, s20, s9
	s_mul_i32 s8, s8, s6
	s_lshl_b64 s[8:9], s[8:9], 4
	s_lshl_b64 s[18:19], s[18:19], 4
	s_add_u32 s6, s8, s18
	s_addc_u32 s8, s9, s19
	s_add_u32 s6, s14, s6
	v_and_b32_e32 v1, 63, v0
	s_addc_u32 s8, s15, s8
	v_cmp_eq_u32_e64 s[2:3], 0, v1
	v_lshrrev_b32_e32 v1, 2, v0
	v_mov_b32_e32 v2, s8
	v_add_co_u32_e32 v3, vcc, s6, v15
	v_addc_co_u32_e32 v2, vcc, 0, v2, vcc
	v_or_b32_e32 v19, 0x8000, v1
	v_mbcnt_lo_u32_b32 v1, -1, 0
	v_add_co_u32_e32 v17, vcc, 8, v3
	v_mbcnt_hi_u32_b32 v20, -1, v1
	v_mov_b32_e32 v1, 0x80
	v_cmp_eq_u32_e64 s[4:5], 0, v0
	v_mov_b32_e32 v16, 0
	v_addc_co_u32_e32 v18, vcc, 0, v2, vcc
	s_mul_i32 s14, s7, s21
	s_lshl_b32 s6, s21, 6
	v_and_b32_e32 v21, 63, v20
	v_lshl_or_b32 v22, v20, 2, v1
	s_branch .LBB1_6
.LBB1_5:                                ;   in Loop: Header=BB1_6 Depth=1
	s_or_b64 exec, exec, s[8:9]
	s_add_i32 s7, s7, 64
	s_add_i32 s14, s14, s6
	s_cmp_ge_i32 s7, s17
	s_cbranch_scc1 .LBB1_23
.LBB1_6:                                ; =>This Loop Header: Depth=1
                                        ;     Child Loop BB1_8 Depth 2
                                        ;     Child Loop BB1_22 Depth 2
	s_ashr_i32 s15, s14, 31
	s_lshl_b64 s[8:9], s[14:15], 4
	v_mov_b32_e32 v6, s9
	v_mov_b32_e32 v3, 0
	;; [unrolled: 1-line block ×3, first 2 shown]
	v_add_co_u32_e32 v5, vcc, s8, v17
	v_mov_b32_e32 v4, 0
	v_mov_b32_e32 v2, 0
	v_addc_co_u32_e32 v6, vcc, v18, v6, vcc
	s_and_saveexec_b64 s[18:19], s[0:1]
	s_cbranch_execz .LBB1_10
; %bb.7:                                ;   in Loop: Header=BB1_6 Depth=1
	v_mov_b32_e32 v3, 0
	v_mov_b32_e32 v8, v6
	;; [unrolled: 1-line block ×4, first 2 shown]
	s_mov_b64 s[20:21], 0
	v_mov_b32_e32 v7, v5
	v_mov_b32_e32 v9, v15
	;; [unrolled: 1-line block ×4, first 2 shown]
.LBB1_8:                                ;   Parent Loop BB1_6 Depth=1
                                        ; =>  This Inner Loop Header: Depth=2
	global_load_dwordx4 v[11:14], v[7:8], off offset:-8
	ds_read_b128 v[23:26], v9
	v_add_u32_e32 v10, 0x80, v10
	v_add_co_u32_e32 v7, vcc, 0x800, v7
	v_cmp_le_i32_e64 s[8:9], s16, v10
	v_add_u32_e32 v9, 0x800, v9
	s_or_b64 s[20:21], s[8:9], s[20:21]
	v_addc_co_u32_e32 v8, vcc, 0, v8, vcc
	s_waitcnt vmcnt(0) lgkmcnt(0)
	v_mul_f64 v[27:28], v[13:14], v[25:26]
	v_mul_f64 v[13:14], v[13:14], v[23:24]
	v_fma_f64 v[23:24], v[11:12], v[23:24], v[27:28]
	v_fma_f64 v[11:12], v[11:12], v[25:26], -v[13:14]
	v_add_f64 v[1:2], v[1:2], v[23:24]
	v_add_f64 v[3:4], v[3:4], v[11:12]
	s_andn2_b64 exec, exec, s[20:21]
	s_cbranch_execnz .LBB1_8
; %bb.9:                                ;   in Loop: Header=BB1_6 Depth=1
	s_or_b64 exec, exec, s[20:21]
.LBB1_10:                               ;   in Loop: Header=BB1_6 Depth=1
	s_or_b64 exec, exec, s[18:19]
	s_and_b64 vcc, exec, s[12:13]
	s_cbranch_vccz .LBB1_17
; %bb.11:                               ;   in Loop: Header=BB1_6 Depth=1
	v_cmp_ne_u32_e32 vcc, 63, v21
	v_addc_co_u32_e32 v7, vcc, 0, v20, vcc
	v_lshlrev_b32_e32 v10, 2, v7
	ds_bpermute_b32 v7, v10, v1
	ds_bpermute_b32 v8, v10, v2
	;; [unrolled: 1-line block ×4, first 2 shown]
	v_cmp_gt_u32_e32 vcc, 62, v21
	v_cndmask_b32_e64 v11, 0, 2, vcc
	s_waitcnt lgkmcnt(2)
	v_add_f64 v[7:8], v[1:2], v[7:8]
	v_add_lshl_u32 v14, v11, v20, 2
	s_waitcnt lgkmcnt(0)
	v_add_f64 v[9:10], v[3:4], v[9:10]
	v_cmp_gt_u32_e32 vcc, 60, v21
	ds_bpermute_b32 v11, v14, v7
	ds_bpermute_b32 v12, v14, v8
	ds_bpermute_b32 v13, v14, v9
	ds_bpermute_b32 v14, v14, v10
	s_waitcnt lgkmcnt(2)
	v_add_f64 v[7:8], v[7:8], v[11:12]
	v_cndmask_b32_e64 v11, 0, 4, vcc
	s_waitcnt lgkmcnt(0)
	v_add_f64 v[9:10], v[9:10], v[13:14]
	v_add_lshl_u32 v14, v11, v20, 2
	v_cmp_gt_u32_e32 vcc, 56, v21
	ds_bpermute_b32 v11, v14, v7
	ds_bpermute_b32 v12, v14, v8
	ds_bpermute_b32 v13, v14, v9
	ds_bpermute_b32 v14, v14, v10
	s_waitcnt lgkmcnt(2)
	v_add_f64 v[7:8], v[7:8], v[11:12]
	v_cndmask_b32_e64 v11, 0, 8, vcc
	s_waitcnt lgkmcnt(0)
	v_add_f64 v[9:10], v[9:10], v[13:14]
	v_add_lshl_u32 v14, v11, v20, 2
	;; [unrolled: 11-line block ×3, first 2 shown]
	ds_bpermute_b32 v11, v14, v7
	ds_bpermute_b32 v12, v14, v8
	;; [unrolled: 1-line block ×4, first 2 shown]
	s_waitcnt lgkmcnt(2)
	v_add_f64 v[7:8], v[7:8], v[11:12]
	s_waitcnt lgkmcnt(0)
	v_add_f64 v[11:12], v[9:10], v[13:14]
	ds_bpermute_b32 v9, v22, v7
	ds_bpermute_b32 v10, v22, v8
	;; [unrolled: 1-line block ×4, first 2 shown]
	s_waitcnt lgkmcnt(2)
	v_add_f64 v[9:10], v[7:8], v[9:10]
	s_waitcnt lgkmcnt(0)
	v_add_f64 v[13:14], v[11:12], v[13:14]
	s_and_saveexec_b64 s[8:9], s[2:3]
; %bb.12:                               ;   in Loop: Header=BB1_6 Depth=1
	ds_write2_b64 v19, v[9:10], v[13:14] offset1:1
; %bb.13:                               ;   in Loop: Header=BB1_6 Depth=1
	s_or_b64 exec, exec, s[8:9]
	s_mov_b64 s[18:19], 0
	s_mov_b64 s[8:9], 0
	s_waitcnt vmcnt(0) lgkmcnt(0)
	s_barrier
                                        ; implicit-def: $vgpr7_vgpr8
                                        ; implicit-def: $vgpr11_vgpr12
	s_and_saveexec_b64 s[20:21], s[4:5]
	s_xor_b64 s[20:21], exec, s[20:21]
	s_cbranch_execz .LBB1_15
; %bb.14:                               ;   in Loop: Header=BB1_6 Depth=1
	ds_read_b128 v[23:26], v16 offset:32784
	s_mov_b64 s[8:9], exec
	s_waitcnt lgkmcnt(0)
	v_add_f64 v[7:8], v[13:14], v[25:26]
	v_add_f64 v[11:12], v[9:10], v[23:24]
.LBB1_15:                               ;   in Loop: Header=BB1_6 Depth=1
	s_or_b64 exec, exec, s[20:21]
	s_and_b64 vcc, exec, s[18:19]
	s_cbranch_vccnz .LBB1_18
.LBB1_16:                               ;   in Loop: Header=BB1_6 Depth=1
	v_mov_b32_e32 v3, v7
	v_mov_b32_e32 v1, v11
	;; [unrolled: 1-line block ×4, first 2 shown]
	s_and_saveexec_b64 s[18:19], s[8:9]
	s_cbranch_execnz .LBB1_19
	s_branch .LBB1_20
.LBB1_17:                               ;   in Loop: Header=BB1_6 Depth=1
	s_mov_b64 s[8:9], 0
                                        ; implicit-def: $vgpr7_vgpr8
                                        ; implicit-def: $vgpr11_vgpr12
	s_cbranch_execz .LBB1_16
.LBB1_18:                               ;   in Loop: Header=BB1_6 Depth=1
	s_andn2_b64 s[8:9], s[8:9], exec
	s_and_b64 s[18:19], s[4:5], exec
	s_or_b64 s[8:9], s[8:9], s[18:19]
	s_and_saveexec_b64 s[18:19], s[8:9]
.LBB1_19:                               ;   in Loop: Header=BB1_6 Depth=1
	ds_write_b128 v16, v[1:4] offset:32768
.LBB1_20:                               ;   in Loop: Header=BB1_6 Depth=1
	s_or_b64 exec, exec, s[18:19]
	s_waitcnt vmcnt(0) lgkmcnt(0)
	s_barrier
	s_and_saveexec_b64 s[8:9], s[0:1]
	s_cbranch_execz .LBB1_5
; %bb.21:                               ;   in Loop: Header=BB1_6 Depth=1
	global_load_dwordx4 v[7:10], v16, s[10:11]
	ds_read_b128 v[1:4], v16 offset:32768
	s_mov_b64 s[18:19], 0
	s_waitcnt vmcnt(0) lgkmcnt(0)
	v_mul_f64 v[11:12], v[9:10], v[3:4]
	v_mul_f64 v[9:10], v[9:10], v[1:2]
	v_fma_f64 v[1:2], v[1:2], -v[7:8], -v[11:12]
	v_fma_f64 v[3:4], v[7:8], v[3:4], -v[9:10]
	v_mov_b32_e32 v7, v15
	v_mov_b32_e32 v8, v0
.LBB1_22:                               ;   Parent Loop BB1_6 Depth=1
                                        ; =>  This Inner Loop Header: Depth=2
	global_load_dwordx4 v[9:12], v[5:6], off offset:-8
	ds_read_b128 v[23:26], v7
	v_add_u32_e32 v8, 0x80, v8
	v_cmp_le_i32_e32 vcc, s16, v8
	s_or_b64 s[18:19], vcc, s[18:19]
	v_add_u32_e32 v7, 0x800, v7
	s_waitcnt lgkmcnt(0)
	v_mul_f64 v[13:14], v[3:4], v[25:26]
	v_mul_f64 v[25:26], v[1:2], v[25:26]
	v_fma_f64 v[13:14], v[1:2], v[23:24], -v[13:14]
	v_fma_f64 v[23:24], v[3:4], v[23:24], v[25:26]
	s_waitcnt vmcnt(0)
	v_add_f64 v[9:10], v[9:10], v[13:14]
	v_add_f64 v[11:12], v[23:24], v[11:12]
	global_store_dwordx4 v[5:6], v[9:12], off offset:-8
	v_add_co_u32_e32 v5, vcc, 0x800, v5
	v_addc_co_u32_e32 v6, vcc, 0, v6, vcc
	s_andn2_b64 exec, exec, s[18:19]
	s_cbranch_execnz .LBB1_22
	s_branch .LBB1_5
.LBB1_23:
	s_endpgm
	.section	.rodata,"a",@progbits
	.p2align	6, 0x0
	.amdhsa_kernel _ZN9rocsolver6v33100L22larf_left_kernel_smallILi128E19rocblas_complex_numIdEiPS3_EEvT1_S5_T2_lS5_lPKT0_lS6_lS5_l
		.amdhsa_group_segment_fixed_size 34816
		.amdhsa_private_segment_fixed_size 0
		.amdhsa_kernarg_size 88
		.amdhsa_user_sgpr_count 6
		.amdhsa_user_sgpr_private_segment_buffer 1
		.amdhsa_user_sgpr_dispatch_ptr 0
		.amdhsa_user_sgpr_queue_ptr 0
		.amdhsa_user_sgpr_kernarg_segment_ptr 1
		.amdhsa_user_sgpr_dispatch_id 0
		.amdhsa_user_sgpr_flat_scratch_init 0
		.amdhsa_user_sgpr_private_segment_size 0
		.amdhsa_uses_dynamic_stack 0
		.amdhsa_system_sgpr_private_segment_wavefront_offset 0
		.amdhsa_system_sgpr_workgroup_id_x 1
		.amdhsa_system_sgpr_workgroup_id_y 1
		.amdhsa_system_sgpr_workgroup_id_z 0
		.amdhsa_system_sgpr_workgroup_info 0
		.amdhsa_system_vgpr_workitem_id 0
		.amdhsa_next_free_vgpr 129
		.amdhsa_next_free_sgpr 98
		.amdhsa_reserve_vcc 1
		.amdhsa_reserve_flat_scratch 0
		.amdhsa_float_round_mode_32 0
		.amdhsa_float_round_mode_16_64 0
		.amdhsa_float_denorm_mode_32 3
		.amdhsa_float_denorm_mode_16_64 3
		.amdhsa_dx10_clamp 1
		.amdhsa_ieee_mode 1
		.amdhsa_fp16_overflow 0
		.amdhsa_exception_fp_ieee_invalid_op 0
		.amdhsa_exception_fp_denorm_src 0
		.amdhsa_exception_fp_ieee_div_zero 0
		.amdhsa_exception_fp_ieee_overflow 0
		.amdhsa_exception_fp_ieee_underflow 0
		.amdhsa_exception_fp_ieee_inexact 0
		.amdhsa_exception_int_div_zero 0
	.end_amdhsa_kernel
	.section	.text._ZN9rocsolver6v33100L22larf_left_kernel_smallILi128E19rocblas_complex_numIdEiPS3_EEvT1_S5_T2_lS5_lPKT0_lS6_lS5_l,"axG",@progbits,_ZN9rocsolver6v33100L22larf_left_kernel_smallILi128E19rocblas_complex_numIdEiPS3_EEvT1_S5_T2_lS5_lPKT0_lS6_lS5_l,comdat
.Lfunc_end1:
	.size	_ZN9rocsolver6v33100L22larf_left_kernel_smallILi128E19rocblas_complex_numIdEiPS3_EEvT1_S5_T2_lS5_lPKT0_lS6_lS5_l, .Lfunc_end1-_ZN9rocsolver6v33100L22larf_left_kernel_smallILi128E19rocblas_complex_numIdEiPS3_EEvT1_S5_T2_lS5_lPKT0_lS6_lS5_l
                                        ; -- End function
	.set _ZN9rocsolver6v33100L22larf_left_kernel_smallILi128E19rocblas_complex_numIdEiPS3_EEvT1_S5_T2_lS5_lPKT0_lS6_lS5_l.num_vgpr, 29
	.set _ZN9rocsolver6v33100L22larf_left_kernel_smallILi128E19rocblas_complex_numIdEiPS3_EEvT1_S5_T2_lS5_lPKT0_lS6_lS5_l.num_agpr, 0
	.set _ZN9rocsolver6v33100L22larf_left_kernel_smallILi128E19rocblas_complex_numIdEiPS3_EEvT1_S5_T2_lS5_lPKT0_lS6_lS5_l.numbered_sgpr, 28
	.set _ZN9rocsolver6v33100L22larf_left_kernel_smallILi128E19rocblas_complex_numIdEiPS3_EEvT1_S5_T2_lS5_lPKT0_lS6_lS5_l.num_named_barrier, 0
	.set _ZN9rocsolver6v33100L22larf_left_kernel_smallILi128E19rocblas_complex_numIdEiPS3_EEvT1_S5_T2_lS5_lPKT0_lS6_lS5_l.private_seg_size, 0
	.set _ZN9rocsolver6v33100L22larf_left_kernel_smallILi128E19rocblas_complex_numIdEiPS3_EEvT1_S5_T2_lS5_lPKT0_lS6_lS5_l.uses_vcc, 1
	.set _ZN9rocsolver6v33100L22larf_left_kernel_smallILi128E19rocblas_complex_numIdEiPS3_EEvT1_S5_T2_lS5_lPKT0_lS6_lS5_l.uses_flat_scratch, 0
	.set _ZN9rocsolver6v33100L22larf_left_kernel_smallILi128E19rocblas_complex_numIdEiPS3_EEvT1_S5_T2_lS5_lPKT0_lS6_lS5_l.has_dyn_sized_stack, 0
	.set _ZN9rocsolver6v33100L22larf_left_kernel_smallILi128E19rocblas_complex_numIdEiPS3_EEvT1_S5_T2_lS5_lPKT0_lS6_lS5_l.has_recursion, 0
	.set _ZN9rocsolver6v33100L22larf_left_kernel_smallILi128E19rocblas_complex_numIdEiPS3_EEvT1_S5_T2_lS5_lPKT0_lS6_lS5_l.has_indirect_call, 0
	.section	.AMDGPU.csdata,"",@progbits
; Kernel info:
; codeLenInByte = 1504
; TotalNumSgprs: 32
; NumVgprs: 29
; ScratchSize: 0
; MemoryBound: 0
; FloatMode: 240
; IeeeMode: 1
; LDSByteSize: 34816 bytes/workgroup (compile time only)
; SGPRBlocks: 12
; VGPRBlocks: 32
; NumSGPRsForWavesPerEU: 102
; NumVGPRsForWavesPerEU: 129
; Occupancy: 1
; WaveLimiterHint : 0
; COMPUTE_PGM_RSRC2:SCRATCH_EN: 0
; COMPUTE_PGM_RSRC2:USER_SGPR: 6
; COMPUTE_PGM_RSRC2:TRAP_HANDLER: 0
; COMPUTE_PGM_RSRC2:TGID_X_EN: 1
; COMPUTE_PGM_RSRC2:TGID_Y_EN: 1
; COMPUTE_PGM_RSRC2:TGID_Z_EN: 0
; COMPUTE_PGM_RSRC2:TIDIG_COMP_CNT: 0
	.section	.text._ZN9rocsolver6v33100L22larf_left_kernel_smallILi256E19rocblas_complex_numIdEiPS3_EEvT1_S5_T2_lS5_lPKT0_lS6_lS5_l,"axG",@progbits,_ZN9rocsolver6v33100L22larf_left_kernel_smallILi256E19rocblas_complex_numIdEiPS3_EEvT1_S5_T2_lS5_lPKT0_lS6_lS5_l,comdat
	.globl	_ZN9rocsolver6v33100L22larf_left_kernel_smallILi256E19rocblas_complex_numIdEiPS3_EEvT1_S5_T2_lS5_lPKT0_lS6_lS5_l ; -- Begin function _ZN9rocsolver6v33100L22larf_left_kernel_smallILi256E19rocblas_complex_numIdEiPS3_EEvT1_S5_T2_lS5_lPKT0_lS6_lS5_l
	.p2align	8
	.type	_ZN9rocsolver6v33100L22larf_left_kernel_smallILi256E19rocblas_complex_numIdEiPS3_EEvT1_S5_T2_lS5_lPKT0_lS6_lS5_l,@function
_ZN9rocsolver6v33100L22larf_left_kernel_smallILi256E19rocblas_complex_numIdEiPS3_EEvT1_S5_T2_lS5_lPKT0_lS6_lS5_l: ; @_ZN9rocsolver6v33100L22larf_left_kernel_smallILi256E19rocblas_complex_numIdEiPS3_EEvT1_S5_T2_lS5_lPKT0_lS6_lS5_l
; %bb.0:
	s_load_dwordx2 s[16:17], s[4:5], 0x0
	s_load_dwordx8 s[8:15], s[4:5], 0x20
	s_load_dwordx2 s[18:19], s[4:5], 0x40
	s_ashr_i32 s20, s6, 31
	v_lshlrev_b32_e32 v15, 4, v0
	s_waitcnt lgkmcnt(0)
	v_cmp_gt_i32_e64 s[0:1], s16, v0
	s_and_saveexec_b64 s[2:3], s[0:1]
	s_cbranch_execz .LBB2_3
; %bb.1:
	s_load_dwordx4 s[24:27], s[4:5], 0x8
	s_load_dword s22, s[4:5], 0x18
	s_mul_i32 s21, s8, s20
	s_mul_hi_u32 s23, s8, s6
	s_add_i32 s21, s23, s21
	s_mul_i32 s9, s9, s6
	s_add_i32 s9, s21, s9
	s_mul_i32 s8, s8, s6
	s_lshl_b64 s[8:9], s[8:9], 4
	s_waitcnt lgkmcnt(0)
	s_add_u32 s21, s24, s8
	s_addc_u32 s23, s25, s9
	s_lshl_b64 s[8:9], s[26:27], 4
	s_add_u32 s21, s21, s8
	v_mul_lo_u32 v1, v0, s22
	s_addc_u32 s23, s23, s9
	s_sub_i32 s8, 1, s16
	s_mul_i32 s8, s22, s8
	s_cmp_lt_i32 s22, 1
	s_cselect_b32 s8, s8, 0
	v_add_u32_e32 v1, s8, v1
	s_lshl_b32 s22, s22, 8
	v_lshlrev_b32_e32 v3, 4, v0
	s_mov_b64 s[8:9], 0
	v_mov_b32_e32 v4, s23
	v_mov_b32_e32 v5, v0
.LBB2_2:                                ; =>This Inner Loop Header: Depth=1
	v_ashrrev_i32_e32 v2, 31, v1
	v_lshlrev_b64 v[6:7], 4, v[1:2]
	v_add_u32_e32 v5, 0x100, v5
	v_add_co_u32_e32 v6, vcc, s21, v6
	v_addc_co_u32_e32 v7, vcc, v4, v7, vcc
	global_load_dwordx4 v[6:9], v[6:7], off
	v_cmp_le_i32_e32 vcc, s16, v5
	v_add_u32_e32 v1, s22, v1
	s_or_b64 s[8:9], vcc, s[8:9]
	s_waitcnt vmcnt(0)
	ds_write2_b64 v3, v[6:7], v[8:9] offset1:1
	v_add_u32_e32 v3, 0x1000, v3
	s_andn2_b64 exec, exec, s[8:9]
	s_cbranch_execnz .LBB2_2
.LBB2_3:
	s_or_b64 exec, exec, s[2:3]
	s_cmp_ge_i32 s7, s17
	s_waitcnt lgkmcnt(0)
	s_barrier
	s_cbranch_scc1 .LBB2_23
; %bb.4:
	s_mul_i32 s2, s12, s20
	s_mul_hi_u32 s3, s12, s6
	s_load_dword s21, s[4:5], 0x48
	s_load_dwordx2 s[8:9], s[4:5], 0x50
	s_add_i32 s2, s3, s2
	s_mul_i32 s3, s13, s6
	s_add_i32 s3, s2, s3
	s_mul_i32 s2, s12, s6
	s_lshl_b64 s[2:3], s[2:3], 4
	s_add_u32 s10, s10, s2
	s_addc_u32 s11, s11, s3
	s_cmp_gt_i32 s16, 1
	s_waitcnt lgkmcnt(0)
	s_mul_i32 s20, s8, s20
	s_mul_hi_u32 s22, s8, s6
	s_cselect_b64 s[12:13], -1, 0
	s_add_i32 s20, s22, s20
	s_mul_i32 s9, s9, s6
	s_add_i32 s9, s20, s9
	s_mul_i32 s8, s8, s6
	s_lshl_b64 s[8:9], s[8:9], 4
	s_lshl_b64 s[18:19], s[18:19], 4
	s_add_u32 s6, s8, s18
	s_addc_u32 s8, s9, s19
	s_add_u32 s6, s14, s6
	v_and_b32_e32 v1, 63, v0
	s_addc_u32 s8, s15, s8
	v_cmp_eq_u32_e64 s[2:3], 0, v1
	v_lshrrev_b32_e32 v1, 2, v0
	v_mov_b32_e32 v2, s8
	v_add_co_u32_e32 v3, vcc, s6, v15
	v_addc_co_u32_e32 v2, vcc, 0, v2, vcc
	v_or_b32_e32 v19, 0x8000, v1
	v_mbcnt_lo_u32_b32 v1, -1, 0
	v_add_co_u32_e32 v17, vcc, 8, v3
	v_mbcnt_hi_u32_b32 v20, -1, v1
	v_mov_b32_e32 v1, 0x80
	v_cmp_eq_u32_e64 s[4:5], 0, v0
	v_mov_b32_e32 v16, 0
	v_addc_co_u32_e32 v18, vcc, 0, v2, vcc
	s_mul_i32 s14, s7, s21
	s_lshl_b32 s6, s21, 6
	v_and_b32_e32 v21, 63, v20
	v_lshl_or_b32 v22, v20, 2, v1
	s_branch .LBB2_6
.LBB2_5:                                ;   in Loop: Header=BB2_6 Depth=1
	s_or_b64 exec, exec, s[8:9]
	s_add_i32 s7, s7, 64
	s_add_i32 s14, s14, s6
	s_cmp_ge_i32 s7, s17
	s_cbranch_scc1 .LBB2_23
.LBB2_6:                                ; =>This Loop Header: Depth=1
                                        ;     Child Loop BB2_8 Depth 2
                                        ;     Child Loop BB2_22 Depth 2
	s_ashr_i32 s15, s14, 31
	s_lshl_b64 s[8:9], s[14:15], 4
	v_mov_b32_e32 v6, s9
	v_mov_b32_e32 v3, 0
	v_mov_b32_e32 v1, 0
	v_add_co_u32_e32 v5, vcc, s8, v17
	v_mov_b32_e32 v4, 0
	v_mov_b32_e32 v2, 0
	v_addc_co_u32_e32 v6, vcc, v18, v6, vcc
	s_and_saveexec_b64 s[18:19], s[0:1]
	s_cbranch_execz .LBB2_10
; %bb.7:                                ;   in Loop: Header=BB2_6 Depth=1
	v_mov_b32_e32 v3, 0
	v_mov_b32_e32 v8, v6
	;; [unrolled: 1-line block ×4, first 2 shown]
	s_mov_b64 s[20:21], 0
	v_mov_b32_e32 v7, v5
	v_mov_b32_e32 v9, v15
	;; [unrolled: 1-line block ×4, first 2 shown]
.LBB2_8:                                ;   Parent Loop BB2_6 Depth=1
                                        ; =>  This Inner Loop Header: Depth=2
	global_load_dwordx4 v[11:14], v[7:8], off offset:-8
	ds_read_b128 v[23:26], v9
	v_add_u32_e32 v10, 0x100, v10
	v_add_co_u32_e32 v7, vcc, 0x1000, v7
	v_cmp_le_i32_e64 s[8:9], s16, v10
	v_add_u32_e32 v9, 0x1000, v9
	s_or_b64 s[20:21], s[8:9], s[20:21]
	v_addc_co_u32_e32 v8, vcc, 0, v8, vcc
	s_waitcnt vmcnt(0) lgkmcnt(0)
	v_mul_f64 v[27:28], v[13:14], v[25:26]
	v_mul_f64 v[13:14], v[13:14], v[23:24]
	v_fma_f64 v[23:24], v[11:12], v[23:24], v[27:28]
	v_fma_f64 v[11:12], v[11:12], v[25:26], -v[13:14]
	v_add_f64 v[1:2], v[1:2], v[23:24]
	v_add_f64 v[3:4], v[3:4], v[11:12]
	s_andn2_b64 exec, exec, s[20:21]
	s_cbranch_execnz .LBB2_8
; %bb.9:                                ;   in Loop: Header=BB2_6 Depth=1
	s_or_b64 exec, exec, s[20:21]
.LBB2_10:                               ;   in Loop: Header=BB2_6 Depth=1
	s_or_b64 exec, exec, s[18:19]
	s_and_b64 vcc, exec, s[12:13]
	s_cbranch_vccz .LBB2_17
; %bb.11:                               ;   in Loop: Header=BB2_6 Depth=1
	v_cmp_ne_u32_e32 vcc, 63, v21
	v_addc_co_u32_e32 v7, vcc, 0, v20, vcc
	v_lshlrev_b32_e32 v10, 2, v7
	ds_bpermute_b32 v7, v10, v1
	ds_bpermute_b32 v8, v10, v2
	;; [unrolled: 1-line block ×4, first 2 shown]
	v_cmp_gt_u32_e32 vcc, 62, v21
	v_cndmask_b32_e64 v11, 0, 2, vcc
	s_waitcnt lgkmcnt(2)
	v_add_f64 v[7:8], v[1:2], v[7:8]
	v_add_lshl_u32 v14, v11, v20, 2
	s_waitcnt lgkmcnt(0)
	v_add_f64 v[9:10], v[3:4], v[9:10]
	v_cmp_gt_u32_e32 vcc, 60, v21
	ds_bpermute_b32 v11, v14, v7
	ds_bpermute_b32 v12, v14, v8
	ds_bpermute_b32 v13, v14, v9
	ds_bpermute_b32 v14, v14, v10
	s_waitcnt lgkmcnt(2)
	v_add_f64 v[7:8], v[7:8], v[11:12]
	v_cndmask_b32_e64 v11, 0, 4, vcc
	s_waitcnt lgkmcnt(0)
	v_add_f64 v[9:10], v[9:10], v[13:14]
	v_add_lshl_u32 v14, v11, v20, 2
	v_cmp_gt_u32_e32 vcc, 56, v21
	ds_bpermute_b32 v11, v14, v7
	ds_bpermute_b32 v12, v14, v8
	ds_bpermute_b32 v13, v14, v9
	ds_bpermute_b32 v14, v14, v10
	s_waitcnt lgkmcnt(2)
	v_add_f64 v[7:8], v[7:8], v[11:12]
	v_cndmask_b32_e64 v11, 0, 8, vcc
	s_waitcnt lgkmcnt(0)
	v_add_f64 v[9:10], v[9:10], v[13:14]
	v_add_lshl_u32 v14, v11, v20, 2
	;; [unrolled: 11-line block ×3, first 2 shown]
	ds_bpermute_b32 v11, v14, v7
	ds_bpermute_b32 v12, v14, v8
	;; [unrolled: 1-line block ×4, first 2 shown]
	s_waitcnt lgkmcnt(2)
	v_add_f64 v[7:8], v[7:8], v[11:12]
	s_waitcnt lgkmcnt(0)
	v_add_f64 v[9:10], v[9:10], v[13:14]
	ds_bpermute_b32 v11, v22, v7
	ds_bpermute_b32 v12, v22, v8
	;; [unrolled: 1-line block ×4, first 2 shown]
	s_waitcnt lgkmcnt(2)
	v_add_f64 v[7:8], v[7:8], v[11:12]
	s_waitcnt lgkmcnt(0)
	v_add_f64 v[9:10], v[9:10], v[13:14]
	s_and_saveexec_b64 s[8:9], s[2:3]
; %bb.12:                               ;   in Loop: Header=BB2_6 Depth=1
	ds_write2_b64 v19, v[7:8], v[9:10] offset1:1
; %bb.13:                               ;   in Loop: Header=BB2_6 Depth=1
	s_or_b64 exec, exec, s[8:9]
	s_mov_b64 s[18:19], 0
	s_mov_b64 s[8:9], 0
	s_waitcnt vmcnt(0) lgkmcnt(0)
	s_barrier
                                        ; implicit-def: $vgpr11_vgpr12
                                        ; implicit-def: $vgpr13_vgpr14
	s_and_saveexec_b64 s[20:21], s[4:5]
	s_xor_b64 s[20:21], exec, s[20:21]
	s_cbranch_execz .LBB2_15
; %bb.14:                               ;   in Loop: Header=BB2_6 Depth=1
	ds_read_b128 v[11:14], v16 offset:32784
	ds_read_b128 v[23:26], v16 offset:32800
	s_mov_b64 s[8:9], exec
	s_waitcnt lgkmcnt(1)
	v_add_f64 v[7:8], v[7:8], v[11:12]
	v_add_f64 v[9:10], v[9:10], v[13:14]
	s_waitcnt lgkmcnt(0)
	v_add_f64 v[11:12], v[7:8], v[23:24]
	v_add_f64 v[23:24], v[9:10], v[25:26]
	ds_read_b128 v[7:10], v16 offset:32816
	s_waitcnt lgkmcnt(0)
	v_add_f64 v[13:14], v[11:12], v[7:8]
	v_add_f64 v[11:12], v[23:24], v[9:10]
.LBB2_15:                               ;   in Loop: Header=BB2_6 Depth=1
	s_or_b64 exec, exec, s[20:21]
	s_and_b64 vcc, exec, s[18:19]
	s_cbranch_vccnz .LBB2_18
.LBB2_16:                               ;   in Loop: Header=BB2_6 Depth=1
	v_mov_b32_e32 v3, v11
	v_mov_b32_e32 v1, v13
	;; [unrolled: 1-line block ×4, first 2 shown]
	s_and_saveexec_b64 s[18:19], s[8:9]
	s_cbranch_execnz .LBB2_19
	s_branch .LBB2_20
.LBB2_17:                               ;   in Loop: Header=BB2_6 Depth=1
	s_mov_b64 s[8:9], 0
                                        ; implicit-def: $vgpr11_vgpr12
                                        ; implicit-def: $vgpr13_vgpr14
	s_cbranch_execz .LBB2_16
.LBB2_18:                               ;   in Loop: Header=BB2_6 Depth=1
	s_andn2_b64 s[8:9], s[8:9], exec
	s_and_b64 s[18:19], s[4:5], exec
	s_or_b64 s[8:9], s[8:9], s[18:19]
	s_and_saveexec_b64 s[18:19], s[8:9]
.LBB2_19:                               ;   in Loop: Header=BB2_6 Depth=1
	ds_write_b128 v16, v[1:4] offset:32768
.LBB2_20:                               ;   in Loop: Header=BB2_6 Depth=1
	s_or_b64 exec, exec, s[18:19]
	s_waitcnt vmcnt(0) lgkmcnt(0)
	s_barrier
	s_and_saveexec_b64 s[8:9], s[0:1]
	s_cbranch_execz .LBB2_5
; %bb.21:                               ;   in Loop: Header=BB2_6 Depth=1
	global_load_dwordx4 v[7:10], v16, s[10:11]
	ds_read_b128 v[1:4], v16 offset:32768
	s_mov_b64 s[18:19], 0
	s_waitcnt vmcnt(0) lgkmcnt(0)
	v_mul_f64 v[11:12], v[9:10], v[3:4]
	v_mul_f64 v[9:10], v[9:10], v[1:2]
	v_fma_f64 v[1:2], v[1:2], -v[7:8], -v[11:12]
	v_fma_f64 v[3:4], v[7:8], v[3:4], -v[9:10]
	v_mov_b32_e32 v7, v15
	v_mov_b32_e32 v8, v0
.LBB2_22:                               ;   Parent Loop BB2_6 Depth=1
                                        ; =>  This Inner Loop Header: Depth=2
	global_load_dwordx4 v[9:12], v[5:6], off offset:-8
	ds_read_b128 v[23:26], v7
	v_add_u32_e32 v8, 0x100, v8
	v_cmp_le_i32_e32 vcc, s16, v8
	s_or_b64 s[18:19], vcc, s[18:19]
	v_add_u32_e32 v7, 0x1000, v7
	s_waitcnt lgkmcnt(0)
	v_mul_f64 v[13:14], v[3:4], v[25:26]
	v_mul_f64 v[25:26], v[1:2], v[25:26]
	v_fma_f64 v[13:14], v[1:2], v[23:24], -v[13:14]
	v_fma_f64 v[23:24], v[3:4], v[23:24], v[25:26]
	s_waitcnt vmcnt(0)
	v_add_f64 v[9:10], v[9:10], v[13:14]
	v_add_f64 v[11:12], v[23:24], v[11:12]
	global_store_dwordx4 v[5:6], v[9:12], off offset:-8
	v_add_co_u32_e32 v5, vcc, 0x1000, v5
	v_addc_co_u32_e32 v6, vcc, 0, v6, vcc
	s_andn2_b64 exec, exec, s[18:19]
	s_cbranch_execnz .LBB2_22
	s_branch .LBB2_5
.LBB2_23:
	s_endpgm
	.section	.rodata,"a",@progbits
	.p2align	6, 0x0
	.amdhsa_kernel _ZN9rocsolver6v33100L22larf_left_kernel_smallILi256E19rocblas_complex_numIdEiPS3_EEvT1_S5_T2_lS5_lPKT0_lS6_lS5_l
		.amdhsa_group_segment_fixed_size 36864
		.amdhsa_private_segment_fixed_size 0
		.amdhsa_kernarg_size 88
		.amdhsa_user_sgpr_count 6
		.amdhsa_user_sgpr_private_segment_buffer 1
		.amdhsa_user_sgpr_dispatch_ptr 0
		.amdhsa_user_sgpr_queue_ptr 0
		.amdhsa_user_sgpr_kernarg_segment_ptr 1
		.amdhsa_user_sgpr_dispatch_id 0
		.amdhsa_user_sgpr_flat_scratch_init 0
		.amdhsa_user_sgpr_private_segment_size 0
		.amdhsa_uses_dynamic_stack 0
		.amdhsa_system_sgpr_private_segment_wavefront_offset 0
		.amdhsa_system_sgpr_workgroup_id_x 1
		.amdhsa_system_sgpr_workgroup_id_y 1
		.amdhsa_system_sgpr_workgroup_id_z 0
		.amdhsa_system_sgpr_workgroup_info 0
		.amdhsa_system_vgpr_workitem_id 0
		.amdhsa_next_free_vgpr 129
		.amdhsa_next_free_sgpr 98
		.amdhsa_reserve_vcc 1
		.amdhsa_reserve_flat_scratch 0
		.amdhsa_float_round_mode_32 0
		.amdhsa_float_round_mode_16_64 0
		.amdhsa_float_denorm_mode_32 3
		.amdhsa_float_denorm_mode_16_64 3
		.amdhsa_dx10_clamp 1
		.amdhsa_ieee_mode 1
		.amdhsa_fp16_overflow 0
		.amdhsa_exception_fp_ieee_invalid_op 0
		.amdhsa_exception_fp_denorm_src 0
		.amdhsa_exception_fp_ieee_div_zero 0
		.amdhsa_exception_fp_ieee_overflow 0
		.amdhsa_exception_fp_ieee_underflow 0
		.amdhsa_exception_fp_ieee_inexact 0
		.amdhsa_exception_int_div_zero 0
	.end_amdhsa_kernel
	.section	.text._ZN9rocsolver6v33100L22larf_left_kernel_smallILi256E19rocblas_complex_numIdEiPS3_EEvT1_S5_T2_lS5_lPKT0_lS6_lS5_l,"axG",@progbits,_ZN9rocsolver6v33100L22larf_left_kernel_smallILi256E19rocblas_complex_numIdEiPS3_EEvT1_S5_T2_lS5_lPKT0_lS6_lS5_l,comdat
.Lfunc_end2:
	.size	_ZN9rocsolver6v33100L22larf_left_kernel_smallILi256E19rocblas_complex_numIdEiPS3_EEvT1_S5_T2_lS5_lPKT0_lS6_lS5_l, .Lfunc_end2-_ZN9rocsolver6v33100L22larf_left_kernel_smallILi256E19rocblas_complex_numIdEiPS3_EEvT1_S5_T2_lS5_lPKT0_lS6_lS5_l
                                        ; -- End function
	.set _ZN9rocsolver6v33100L22larf_left_kernel_smallILi256E19rocblas_complex_numIdEiPS3_EEvT1_S5_T2_lS5_lPKT0_lS6_lS5_l.num_vgpr, 29
	.set _ZN9rocsolver6v33100L22larf_left_kernel_smallILi256E19rocblas_complex_numIdEiPS3_EEvT1_S5_T2_lS5_lPKT0_lS6_lS5_l.num_agpr, 0
	.set _ZN9rocsolver6v33100L22larf_left_kernel_smallILi256E19rocblas_complex_numIdEiPS3_EEvT1_S5_T2_lS5_lPKT0_lS6_lS5_l.numbered_sgpr, 28
	.set _ZN9rocsolver6v33100L22larf_left_kernel_smallILi256E19rocblas_complex_numIdEiPS3_EEvT1_S5_T2_lS5_lPKT0_lS6_lS5_l.num_named_barrier, 0
	.set _ZN9rocsolver6v33100L22larf_left_kernel_smallILi256E19rocblas_complex_numIdEiPS3_EEvT1_S5_T2_lS5_lPKT0_lS6_lS5_l.private_seg_size, 0
	.set _ZN9rocsolver6v33100L22larf_left_kernel_smallILi256E19rocblas_complex_numIdEiPS3_EEvT1_S5_T2_lS5_lPKT0_lS6_lS5_l.uses_vcc, 1
	.set _ZN9rocsolver6v33100L22larf_left_kernel_smallILi256E19rocblas_complex_numIdEiPS3_EEvT1_S5_T2_lS5_lPKT0_lS6_lS5_l.uses_flat_scratch, 0
	.set _ZN9rocsolver6v33100L22larf_left_kernel_smallILi256E19rocblas_complex_numIdEiPS3_EEvT1_S5_T2_lS5_lPKT0_lS6_lS5_l.has_dyn_sized_stack, 0
	.set _ZN9rocsolver6v33100L22larf_left_kernel_smallILi256E19rocblas_complex_numIdEiPS3_EEvT1_S5_T2_lS5_lPKT0_lS6_lS5_l.has_recursion, 0
	.set _ZN9rocsolver6v33100L22larf_left_kernel_smallILi256E19rocblas_complex_numIdEiPS3_EEvT1_S5_T2_lS5_lPKT0_lS6_lS5_l.has_indirect_call, 0
	.section	.AMDGPU.csdata,"",@progbits
; Kernel info:
; codeLenInByte = 1560
; TotalNumSgprs: 32
; NumVgprs: 29
; ScratchSize: 0
; MemoryBound: 0
; FloatMode: 240
; IeeeMode: 1
; LDSByteSize: 36864 bytes/workgroup (compile time only)
; SGPRBlocks: 12
; VGPRBlocks: 32
; NumSGPRsForWavesPerEU: 102
; NumVGPRsForWavesPerEU: 129
; Occupancy: 1
; WaveLimiterHint : 0
; COMPUTE_PGM_RSRC2:SCRATCH_EN: 0
; COMPUTE_PGM_RSRC2:USER_SGPR: 6
; COMPUTE_PGM_RSRC2:TRAP_HANDLER: 0
; COMPUTE_PGM_RSRC2:TGID_X_EN: 1
; COMPUTE_PGM_RSRC2:TGID_Y_EN: 1
; COMPUTE_PGM_RSRC2:TGID_Z_EN: 0
; COMPUTE_PGM_RSRC2:TIDIG_COMP_CNT: 0
	.section	.text._ZN9rocsolver6v33100L22larf_left_kernel_smallILi512E19rocblas_complex_numIdEiPS3_EEvT1_S5_T2_lS5_lPKT0_lS6_lS5_l,"axG",@progbits,_ZN9rocsolver6v33100L22larf_left_kernel_smallILi512E19rocblas_complex_numIdEiPS3_EEvT1_S5_T2_lS5_lPKT0_lS6_lS5_l,comdat
	.globl	_ZN9rocsolver6v33100L22larf_left_kernel_smallILi512E19rocblas_complex_numIdEiPS3_EEvT1_S5_T2_lS5_lPKT0_lS6_lS5_l ; -- Begin function _ZN9rocsolver6v33100L22larf_left_kernel_smallILi512E19rocblas_complex_numIdEiPS3_EEvT1_S5_T2_lS5_lPKT0_lS6_lS5_l
	.p2align	8
	.type	_ZN9rocsolver6v33100L22larf_left_kernel_smallILi512E19rocblas_complex_numIdEiPS3_EEvT1_S5_T2_lS5_lPKT0_lS6_lS5_l,@function
_ZN9rocsolver6v33100L22larf_left_kernel_smallILi512E19rocblas_complex_numIdEiPS3_EEvT1_S5_T2_lS5_lPKT0_lS6_lS5_l: ; @_ZN9rocsolver6v33100L22larf_left_kernel_smallILi512E19rocblas_complex_numIdEiPS3_EEvT1_S5_T2_lS5_lPKT0_lS6_lS5_l
; %bb.0:
	s_load_dwordx2 s[16:17], s[4:5], 0x0
	s_load_dwordx8 s[8:15], s[4:5], 0x20
	s_load_dwordx2 s[18:19], s[4:5], 0x40
	s_ashr_i32 s20, s6, 31
	v_lshlrev_b32_e32 v15, 4, v0
	s_waitcnt lgkmcnt(0)
	v_cmp_gt_i32_e64 s[0:1], s16, v0
	s_and_saveexec_b64 s[2:3], s[0:1]
	s_cbranch_execz .LBB3_3
; %bb.1:
	s_load_dwordx4 s[24:27], s[4:5], 0x8
	s_load_dword s22, s[4:5], 0x18
	s_mul_i32 s21, s8, s20
	s_mul_hi_u32 s23, s8, s6
	s_add_i32 s21, s23, s21
	s_mul_i32 s9, s9, s6
	s_add_i32 s9, s21, s9
	s_mul_i32 s8, s8, s6
	s_lshl_b64 s[8:9], s[8:9], 4
	s_waitcnt lgkmcnt(0)
	s_add_u32 s21, s24, s8
	s_addc_u32 s23, s25, s9
	s_lshl_b64 s[8:9], s[26:27], 4
	s_add_u32 s21, s21, s8
	v_mul_lo_u32 v1, v0, s22
	s_addc_u32 s23, s23, s9
	s_sub_i32 s8, 1, s16
	s_mul_i32 s8, s22, s8
	s_cmp_lt_i32 s22, 1
	s_cselect_b32 s8, s8, 0
	v_add_u32_e32 v1, s8, v1
	s_lshl_b32 s22, s22, 9
	v_lshlrev_b32_e32 v3, 4, v0
	s_mov_b64 s[8:9], 0
	v_mov_b32_e32 v4, s23
	v_mov_b32_e32 v5, v0
.LBB3_2:                                ; =>This Inner Loop Header: Depth=1
	v_ashrrev_i32_e32 v2, 31, v1
	v_lshlrev_b64 v[6:7], 4, v[1:2]
	v_add_u32_e32 v5, 0x200, v5
	v_add_co_u32_e32 v6, vcc, s21, v6
	v_addc_co_u32_e32 v7, vcc, v4, v7, vcc
	global_load_dwordx4 v[6:9], v[6:7], off
	v_cmp_le_i32_e32 vcc, s16, v5
	v_add_u32_e32 v1, s22, v1
	s_or_b64 s[8:9], vcc, s[8:9]
	s_waitcnt vmcnt(0)
	ds_write2_b64 v3, v[6:7], v[8:9] offset1:1
	v_add_u32_e32 v3, 0x2000, v3
	s_andn2_b64 exec, exec, s[8:9]
	s_cbranch_execnz .LBB3_2
.LBB3_3:
	s_or_b64 exec, exec, s[2:3]
	s_cmp_ge_i32 s7, s17
	s_waitcnt lgkmcnt(0)
	s_barrier
	s_cbranch_scc1 .LBB3_23
; %bb.4:
	s_mul_i32 s2, s12, s20
	s_mul_hi_u32 s3, s12, s6
	s_load_dword s21, s[4:5], 0x48
	s_load_dwordx2 s[8:9], s[4:5], 0x50
	s_add_i32 s2, s3, s2
	s_mul_i32 s3, s13, s6
	s_add_i32 s3, s2, s3
	s_mul_i32 s2, s12, s6
	s_lshl_b64 s[2:3], s[2:3], 4
	s_add_u32 s10, s10, s2
	s_addc_u32 s11, s11, s3
	s_cmp_gt_i32 s16, 1
	s_waitcnt lgkmcnt(0)
	s_mul_i32 s20, s8, s20
	s_mul_hi_u32 s22, s8, s6
	s_cselect_b64 s[12:13], -1, 0
	s_add_i32 s20, s22, s20
	s_mul_i32 s9, s9, s6
	s_add_i32 s9, s20, s9
	s_mul_i32 s8, s8, s6
	s_lshl_b64 s[8:9], s[8:9], 4
	s_lshl_b64 s[18:19], s[18:19], 4
	s_add_u32 s6, s8, s18
	s_addc_u32 s8, s9, s19
	s_add_u32 s6, s14, s6
	v_and_b32_e32 v1, 63, v0
	s_addc_u32 s8, s15, s8
	v_cmp_eq_u32_e64 s[2:3], 0, v1
	v_lshrrev_b32_e32 v1, 2, v0
	v_mov_b32_e32 v2, s8
	v_add_co_u32_e32 v3, vcc, s6, v15
	v_addc_co_u32_e32 v2, vcc, 0, v2, vcc
	v_or_b32_e32 v19, 0x8000, v1
	v_mbcnt_lo_u32_b32 v1, -1, 0
	v_add_co_u32_e32 v17, vcc, 8, v3
	v_mbcnt_hi_u32_b32 v20, -1, v1
	v_mov_b32_e32 v1, 0x80
	v_cmp_eq_u32_e64 s[4:5], 0, v0
	v_mov_b32_e32 v16, 0
	v_addc_co_u32_e32 v18, vcc, 0, v2, vcc
	s_mul_i32 s14, s7, s21
	s_lshl_b32 s6, s21, 6
	v_and_b32_e32 v21, 63, v20
	v_lshl_or_b32 v22, v20, 2, v1
	s_branch .LBB3_6
.LBB3_5:                                ;   in Loop: Header=BB3_6 Depth=1
	s_or_b64 exec, exec, s[8:9]
	s_add_i32 s7, s7, 64
	s_add_i32 s14, s14, s6
	s_cmp_ge_i32 s7, s17
	s_cbranch_scc1 .LBB3_23
.LBB3_6:                                ; =>This Loop Header: Depth=1
                                        ;     Child Loop BB3_8 Depth 2
                                        ;     Child Loop BB3_22 Depth 2
	s_ashr_i32 s15, s14, 31
	s_lshl_b64 s[8:9], s[14:15], 4
	v_mov_b32_e32 v6, s9
	v_mov_b32_e32 v3, 0
	;; [unrolled: 1-line block ×3, first 2 shown]
	v_add_co_u32_e32 v5, vcc, s8, v17
	v_mov_b32_e32 v4, 0
	v_mov_b32_e32 v2, 0
	v_addc_co_u32_e32 v6, vcc, v18, v6, vcc
	s_and_saveexec_b64 s[18:19], s[0:1]
	s_cbranch_execz .LBB3_10
; %bb.7:                                ;   in Loop: Header=BB3_6 Depth=1
	v_mov_b32_e32 v3, 0
	v_mov_b32_e32 v8, v6
	;; [unrolled: 1-line block ×4, first 2 shown]
	s_mov_b64 s[20:21], 0
	v_mov_b32_e32 v7, v5
	v_mov_b32_e32 v9, v15
	;; [unrolled: 1-line block ×4, first 2 shown]
.LBB3_8:                                ;   Parent Loop BB3_6 Depth=1
                                        ; =>  This Inner Loop Header: Depth=2
	global_load_dwordx4 v[11:14], v[7:8], off offset:-8
	ds_read_b128 v[23:26], v9
	v_add_u32_e32 v10, 0x200, v10
	v_add_co_u32_e32 v7, vcc, 0x2000, v7
	v_cmp_le_i32_e64 s[8:9], s16, v10
	v_add_u32_e32 v9, 0x2000, v9
	s_or_b64 s[20:21], s[8:9], s[20:21]
	v_addc_co_u32_e32 v8, vcc, 0, v8, vcc
	s_waitcnt vmcnt(0) lgkmcnt(0)
	v_mul_f64 v[27:28], v[13:14], v[25:26]
	v_mul_f64 v[13:14], v[13:14], v[23:24]
	v_fma_f64 v[23:24], v[11:12], v[23:24], v[27:28]
	v_fma_f64 v[11:12], v[11:12], v[25:26], -v[13:14]
	v_add_f64 v[1:2], v[1:2], v[23:24]
	v_add_f64 v[3:4], v[3:4], v[11:12]
	s_andn2_b64 exec, exec, s[20:21]
	s_cbranch_execnz .LBB3_8
; %bb.9:                                ;   in Loop: Header=BB3_6 Depth=1
	s_or_b64 exec, exec, s[20:21]
.LBB3_10:                               ;   in Loop: Header=BB3_6 Depth=1
	s_or_b64 exec, exec, s[18:19]
	s_and_b64 vcc, exec, s[12:13]
	s_cbranch_vccz .LBB3_17
; %bb.11:                               ;   in Loop: Header=BB3_6 Depth=1
	v_cmp_ne_u32_e32 vcc, 63, v21
	v_addc_co_u32_e32 v7, vcc, 0, v20, vcc
	v_lshlrev_b32_e32 v10, 2, v7
	ds_bpermute_b32 v7, v10, v1
	ds_bpermute_b32 v8, v10, v2
	;; [unrolled: 1-line block ×4, first 2 shown]
	v_cmp_gt_u32_e32 vcc, 62, v21
	v_cndmask_b32_e64 v11, 0, 2, vcc
	s_waitcnt lgkmcnt(2)
	v_add_f64 v[7:8], v[1:2], v[7:8]
	v_add_lshl_u32 v14, v11, v20, 2
	s_waitcnt lgkmcnt(0)
	v_add_f64 v[9:10], v[3:4], v[9:10]
	v_cmp_gt_u32_e32 vcc, 60, v21
	ds_bpermute_b32 v11, v14, v7
	ds_bpermute_b32 v12, v14, v8
	ds_bpermute_b32 v13, v14, v9
	ds_bpermute_b32 v14, v14, v10
	s_waitcnt lgkmcnt(2)
	v_add_f64 v[7:8], v[7:8], v[11:12]
	v_cndmask_b32_e64 v11, 0, 4, vcc
	s_waitcnt lgkmcnt(0)
	v_add_f64 v[9:10], v[9:10], v[13:14]
	v_add_lshl_u32 v14, v11, v20, 2
	v_cmp_gt_u32_e32 vcc, 56, v21
	ds_bpermute_b32 v11, v14, v7
	ds_bpermute_b32 v12, v14, v8
	ds_bpermute_b32 v13, v14, v9
	ds_bpermute_b32 v14, v14, v10
	s_waitcnt lgkmcnt(2)
	v_add_f64 v[7:8], v[7:8], v[11:12]
	v_cndmask_b32_e64 v11, 0, 8, vcc
	s_waitcnt lgkmcnt(0)
	v_add_f64 v[9:10], v[9:10], v[13:14]
	v_add_lshl_u32 v14, v11, v20, 2
	;; [unrolled: 11-line block ×3, first 2 shown]
	ds_bpermute_b32 v11, v14, v7
	ds_bpermute_b32 v12, v14, v8
	ds_bpermute_b32 v13, v14, v9
	ds_bpermute_b32 v14, v14, v10
	s_waitcnt lgkmcnt(2)
	v_add_f64 v[7:8], v[7:8], v[11:12]
	s_waitcnt lgkmcnt(0)
	v_add_f64 v[9:10], v[9:10], v[13:14]
	ds_bpermute_b32 v11, v22, v7
	ds_bpermute_b32 v12, v22, v8
	;; [unrolled: 1-line block ×4, first 2 shown]
	s_waitcnt lgkmcnt(2)
	v_add_f64 v[7:8], v[7:8], v[11:12]
	s_waitcnt lgkmcnt(0)
	v_add_f64 v[9:10], v[9:10], v[13:14]
	s_and_saveexec_b64 s[8:9], s[2:3]
; %bb.12:                               ;   in Loop: Header=BB3_6 Depth=1
	ds_write2_b64 v19, v[7:8], v[9:10] offset1:1
; %bb.13:                               ;   in Loop: Header=BB3_6 Depth=1
	s_or_b64 exec, exec, s[8:9]
	s_mov_b64 s[18:19], 0
	s_mov_b64 s[8:9], 0
	s_waitcnt vmcnt(0) lgkmcnt(0)
	s_barrier
                                        ; implicit-def: $vgpr11_vgpr12
                                        ; implicit-def: $vgpr13_vgpr14
	s_and_saveexec_b64 s[20:21], s[4:5]
	s_xor_b64 s[20:21], exec, s[20:21]
	s_cbranch_execz .LBB3_15
; %bb.14:                               ;   in Loop: Header=BB3_6 Depth=1
	ds_read_b128 v[11:14], v16 offset:32784
	ds_read_b128 v[23:26], v16 offset:32800
	s_mov_b64 s[8:9], exec
	s_waitcnt lgkmcnt(1)
	v_add_f64 v[7:8], v[7:8], v[11:12]
	v_add_f64 v[9:10], v[9:10], v[13:14]
	s_waitcnt lgkmcnt(0)
	v_add_f64 v[23:24], v[7:8], v[23:24]
	v_add_f64 v[25:26], v[9:10], v[25:26]
	ds_read_b128 v[7:10], v16 offset:32816
	ds_read_b128 v[11:14], v16 offset:32832
	s_waitcnt lgkmcnt(1)
	v_add_f64 v[7:8], v[23:24], v[7:8]
	v_add_f64 v[9:10], v[25:26], v[9:10]
	s_waitcnt lgkmcnt(0)
	v_add_f64 v[23:24], v[7:8], v[11:12]
	v_add_f64 v[25:26], v[9:10], v[13:14]
	ds_read_b128 v[7:10], v16 offset:32848
	ds_read_b128 v[11:14], v16 offset:32864
	s_waitcnt lgkmcnt(1)
	v_add_f64 v[7:8], v[23:24], v[7:8]
	v_add_f64 v[9:10], v[25:26], v[9:10]
	s_waitcnt lgkmcnt(0)
	v_add_f64 v[11:12], v[7:8], v[11:12]
	v_add_f64 v[23:24], v[9:10], v[13:14]
	ds_read_b128 v[7:10], v16 offset:32880
	s_waitcnt lgkmcnt(0)
	v_add_f64 v[13:14], v[11:12], v[7:8]
	v_add_f64 v[11:12], v[23:24], v[9:10]
.LBB3_15:                               ;   in Loop: Header=BB3_6 Depth=1
	s_or_b64 exec, exec, s[20:21]
	s_and_b64 vcc, exec, s[18:19]
	s_cbranch_vccnz .LBB3_18
.LBB3_16:                               ;   in Loop: Header=BB3_6 Depth=1
	v_mov_b32_e32 v3, v11
	v_mov_b32_e32 v1, v13
	v_mov_b32_e32 v4, v12
	v_mov_b32_e32 v2, v14
	s_and_saveexec_b64 s[18:19], s[8:9]
	s_cbranch_execnz .LBB3_19
	s_branch .LBB3_20
.LBB3_17:                               ;   in Loop: Header=BB3_6 Depth=1
	s_mov_b64 s[8:9], 0
                                        ; implicit-def: $vgpr11_vgpr12
                                        ; implicit-def: $vgpr13_vgpr14
	s_cbranch_execz .LBB3_16
.LBB3_18:                               ;   in Loop: Header=BB3_6 Depth=1
	s_andn2_b64 s[8:9], s[8:9], exec
	s_and_b64 s[18:19], s[4:5], exec
	s_or_b64 s[8:9], s[8:9], s[18:19]
	s_and_saveexec_b64 s[18:19], s[8:9]
.LBB3_19:                               ;   in Loop: Header=BB3_6 Depth=1
	ds_write_b128 v16, v[1:4] offset:32768
.LBB3_20:                               ;   in Loop: Header=BB3_6 Depth=1
	s_or_b64 exec, exec, s[18:19]
	s_waitcnt vmcnt(0) lgkmcnt(0)
	s_barrier
	s_and_saveexec_b64 s[8:9], s[0:1]
	s_cbranch_execz .LBB3_5
; %bb.21:                               ;   in Loop: Header=BB3_6 Depth=1
	global_load_dwordx4 v[7:10], v16, s[10:11]
	ds_read_b128 v[1:4], v16 offset:32768
	s_mov_b64 s[18:19], 0
	s_waitcnt vmcnt(0) lgkmcnt(0)
	v_mul_f64 v[11:12], v[9:10], v[3:4]
	v_mul_f64 v[9:10], v[9:10], v[1:2]
	v_fma_f64 v[1:2], v[1:2], -v[7:8], -v[11:12]
	v_fma_f64 v[3:4], v[7:8], v[3:4], -v[9:10]
	v_mov_b32_e32 v7, v15
	v_mov_b32_e32 v8, v0
.LBB3_22:                               ;   Parent Loop BB3_6 Depth=1
                                        ; =>  This Inner Loop Header: Depth=2
	global_load_dwordx4 v[9:12], v[5:6], off offset:-8
	ds_read_b128 v[23:26], v7
	v_add_u32_e32 v8, 0x200, v8
	v_cmp_le_i32_e32 vcc, s16, v8
	s_or_b64 s[18:19], vcc, s[18:19]
	v_add_u32_e32 v7, 0x2000, v7
	s_waitcnt lgkmcnt(0)
	v_mul_f64 v[13:14], v[3:4], v[25:26]
	v_mul_f64 v[25:26], v[1:2], v[25:26]
	v_fma_f64 v[13:14], v[1:2], v[23:24], -v[13:14]
	v_fma_f64 v[23:24], v[3:4], v[23:24], v[25:26]
	s_waitcnt vmcnt(0)
	v_add_f64 v[9:10], v[9:10], v[13:14]
	v_add_f64 v[11:12], v[23:24], v[11:12]
	global_store_dwordx4 v[5:6], v[9:12], off offset:-8
	v_add_co_u32_e32 v5, vcc, 0x2000, v5
	v_addc_co_u32_e32 v6, vcc, 0, v6, vcc
	s_andn2_b64 exec, exec, s[18:19]
	s_cbranch_execnz .LBB3_22
	s_branch .LBB3_5
.LBB3_23:
	s_endpgm
	.section	.rodata,"a",@progbits
	.p2align	6, 0x0
	.amdhsa_kernel _ZN9rocsolver6v33100L22larf_left_kernel_smallILi512E19rocblas_complex_numIdEiPS3_EEvT1_S5_T2_lS5_lPKT0_lS6_lS5_l
		.amdhsa_group_segment_fixed_size 40960
		.amdhsa_private_segment_fixed_size 0
		.amdhsa_kernarg_size 88
		.amdhsa_user_sgpr_count 6
		.amdhsa_user_sgpr_private_segment_buffer 1
		.amdhsa_user_sgpr_dispatch_ptr 0
		.amdhsa_user_sgpr_queue_ptr 0
		.amdhsa_user_sgpr_kernarg_segment_ptr 1
		.amdhsa_user_sgpr_dispatch_id 0
		.amdhsa_user_sgpr_flat_scratch_init 0
		.amdhsa_user_sgpr_private_segment_size 0
		.amdhsa_uses_dynamic_stack 0
		.amdhsa_system_sgpr_private_segment_wavefront_offset 0
		.amdhsa_system_sgpr_workgroup_id_x 1
		.amdhsa_system_sgpr_workgroup_id_y 1
		.amdhsa_system_sgpr_workgroup_id_z 0
		.amdhsa_system_sgpr_workgroup_info 0
		.amdhsa_system_vgpr_workitem_id 0
		.amdhsa_next_free_vgpr 85
		.amdhsa_next_free_sgpr 98
		.amdhsa_reserve_vcc 1
		.amdhsa_reserve_flat_scratch 0
		.amdhsa_float_round_mode_32 0
		.amdhsa_float_round_mode_16_64 0
		.amdhsa_float_denorm_mode_32 3
		.amdhsa_float_denorm_mode_16_64 3
		.amdhsa_dx10_clamp 1
		.amdhsa_ieee_mode 1
		.amdhsa_fp16_overflow 0
		.amdhsa_exception_fp_ieee_invalid_op 0
		.amdhsa_exception_fp_denorm_src 0
		.amdhsa_exception_fp_ieee_div_zero 0
		.amdhsa_exception_fp_ieee_overflow 0
		.amdhsa_exception_fp_ieee_underflow 0
		.amdhsa_exception_fp_ieee_inexact 0
		.amdhsa_exception_int_div_zero 0
	.end_amdhsa_kernel
	.section	.text._ZN9rocsolver6v33100L22larf_left_kernel_smallILi512E19rocblas_complex_numIdEiPS3_EEvT1_S5_T2_lS5_lPKT0_lS6_lS5_l,"axG",@progbits,_ZN9rocsolver6v33100L22larf_left_kernel_smallILi512E19rocblas_complex_numIdEiPS3_EEvT1_S5_T2_lS5_lPKT0_lS6_lS5_l,comdat
.Lfunc_end3:
	.size	_ZN9rocsolver6v33100L22larf_left_kernel_smallILi512E19rocblas_complex_numIdEiPS3_EEvT1_S5_T2_lS5_lPKT0_lS6_lS5_l, .Lfunc_end3-_ZN9rocsolver6v33100L22larf_left_kernel_smallILi512E19rocblas_complex_numIdEiPS3_EEvT1_S5_T2_lS5_lPKT0_lS6_lS5_l
                                        ; -- End function
	.set _ZN9rocsolver6v33100L22larf_left_kernel_smallILi512E19rocblas_complex_numIdEiPS3_EEvT1_S5_T2_lS5_lPKT0_lS6_lS5_l.num_vgpr, 29
	.set _ZN9rocsolver6v33100L22larf_left_kernel_smallILi512E19rocblas_complex_numIdEiPS3_EEvT1_S5_T2_lS5_lPKT0_lS6_lS5_l.num_agpr, 0
	.set _ZN9rocsolver6v33100L22larf_left_kernel_smallILi512E19rocblas_complex_numIdEiPS3_EEvT1_S5_T2_lS5_lPKT0_lS6_lS5_l.numbered_sgpr, 28
	.set _ZN9rocsolver6v33100L22larf_left_kernel_smallILi512E19rocblas_complex_numIdEiPS3_EEvT1_S5_T2_lS5_lPKT0_lS6_lS5_l.num_named_barrier, 0
	.set _ZN9rocsolver6v33100L22larf_left_kernel_smallILi512E19rocblas_complex_numIdEiPS3_EEvT1_S5_T2_lS5_lPKT0_lS6_lS5_l.private_seg_size, 0
	.set _ZN9rocsolver6v33100L22larf_left_kernel_smallILi512E19rocblas_complex_numIdEiPS3_EEvT1_S5_T2_lS5_lPKT0_lS6_lS5_l.uses_vcc, 1
	.set _ZN9rocsolver6v33100L22larf_left_kernel_smallILi512E19rocblas_complex_numIdEiPS3_EEvT1_S5_T2_lS5_lPKT0_lS6_lS5_l.uses_flat_scratch, 0
	.set _ZN9rocsolver6v33100L22larf_left_kernel_smallILi512E19rocblas_complex_numIdEiPS3_EEvT1_S5_T2_lS5_lPKT0_lS6_lS5_l.has_dyn_sized_stack, 0
	.set _ZN9rocsolver6v33100L22larf_left_kernel_smallILi512E19rocblas_complex_numIdEiPS3_EEvT1_S5_T2_lS5_lPKT0_lS6_lS5_l.has_recursion, 0
	.set _ZN9rocsolver6v33100L22larf_left_kernel_smallILi512E19rocblas_complex_numIdEiPS3_EEvT1_S5_T2_lS5_lPKT0_lS6_lS5_l.has_indirect_call, 0
	.section	.AMDGPU.csdata,"",@progbits
; Kernel info:
; codeLenInByte = 1672
; TotalNumSgprs: 32
; NumVgprs: 29
; ScratchSize: 0
; MemoryBound: 0
; FloatMode: 240
; IeeeMode: 1
; LDSByteSize: 40960 bytes/workgroup (compile time only)
; SGPRBlocks: 12
; VGPRBlocks: 21
; NumSGPRsForWavesPerEU: 102
; NumVGPRsForWavesPerEU: 85
; Occupancy: 2
; WaveLimiterHint : 0
; COMPUTE_PGM_RSRC2:SCRATCH_EN: 0
; COMPUTE_PGM_RSRC2:USER_SGPR: 6
; COMPUTE_PGM_RSRC2:TRAP_HANDLER: 0
; COMPUTE_PGM_RSRC2:TGID_X_EN: 1
; COMPUTE_PGM_RSRC2:TGID_Y_EN: 1
; COMPUTE_PGM_RSRC2:TGID_Z_EN: 0
; COMPUTE_PGM_RSRC2:TIDIG_COMP_CNT: 0
	.section	.text._ZN9rocsolver6v33100L22larf_left_kernel_smallILi1024E19rocblas_complex_numIdEiPS3_EEvT1_S5_T2_lS5_lPKT0_lS6_lS5_l,"axG",@progbits,_ZN9rocsolver6v33100L22larf_left_kernel_smallILi1024E19rocblas_complex_numIdEiPS3_EEvT1_S5_T2_lS5_lPKT0_lS6_lS5_l,comdat
	.globl	_ZN9rocsolver6v33100L22larf_left_kernel_smallILi1024E19rocblas_complex_numIdEiPS3_EEvT1_S5_T2_lS5_lPKT0_lS6_lS5_l ; -- Begin function _ZN9rocsolver6v33100L22larf_left_kernel_smallILi1024E19rocblas_complex_numIdEiPS3_EEvT1_S5_T2_lS5_lPKT0_lS6_lS5_l
	.p2align	8
	.type	_ZN9rocsolver6v33100L22larf_left_kernel_smallILi1024E19rocblas_complex_numIdEiPS3_EEvT1_S5_T2_lS5_lPKT0_lS6_lS5_l,@function
_ZN9rocsolver6v33100L22larf_left_kernel_smallILi1024E19rocblas_complex_numIdEiPS3_EEvT1_S5_T2_lS5_lPKT0_lS6_lS5_l: ; @_ZN9rocsolver6v33100L22larf_left_kernel_smallILi1024E19rocblas_complex_numIdEiPS3_EEvT1_S5_T2_lS5_lPKT0_lS6_lS5_l
; %bb.0:
	s_load_dwordx2 s[16:17], s[4:5], 0x0
	s_load_dwordx8 s[8:15], s[4:5], 0x20
	s_load_dwordx2 s[18:19], s[4:5], 0x40
	s_ashr_i32 s20, s6, 31
	v_lshlrev_b32_e32 v15, 4, v0
	s_waitcnt lgkmcnt(0)
	v_cmp_gt_i32_e64 s[0:1], s16, v0
	s_and_saveexec_b64 s[2:3], s[0:1]
	s_cbranch_execz .LBB4_3
; %bb.1:
	s_load_dwordx4 s[24:27], s[4:5], 0x8
	s_load_dword s22, s[4:5], 0x18
	s_mul_i32 s21, s8, s20
	s_mul_hi_u32 s23, s8, s6
	s_add_i32 s21, s23, s21
	s_mul_i32 s9, s9, s6
	s_add_i32 s9, s21, s9
	s_mul_i32 s8, s8, s6
	s_lshl_b64 s[8:9], s[8:9], 4
	s_waitcnt lgkmcnt(0)
	s_add_u32 s21, s24, s8
	s_addc_u32 s23, s25, s9
	s_lshl_b64 s[8:9], s[26:27], 4
	s_add_u32 s21, s21, s8
	v_mul_lo_u32 v1, v0, s22
	s_addc_u32 s23, s23, s9
	s_sub_i32 s8, 1, s16
	s_mul_i32 s8, s22, s8
	s_cmp_lt_i32 s22, 1
	s_cselect_b32 s8, s8, 0
	v_add_u32_e32 v1, s8, v1
	s_lshl_b32 s22, s22, 10
	v_lshlrev_b32_e32 v3, 4, v0
	s_mov_b64 s[8:9], 0
	v_mov_b32_e32 v4, s23
	v_mov_b32_e32 v5, v0
.LBB4_2:                                ; =>This Inner Loop Header: Depth=1
	v_ashrrev_i32_e32 v2, 31, v1
	v_lshlrev_b64 v[6:7], 4, v[1:2]
	v_add_u32_e32 v5, 0x400, v5
	v_add_co_u32_e32 v6, vcc, s21, v6
	v_addc_co_u32_e32 v7, vcc, v4, v7, vcc
	global_load_dwordx4 v[6:9], v[6:7], off
	v_cmp_le_i32_e32 vcc, s16, v5
	v_add_u32_e32 v1, s22, v1
	s_or_b64 s[8:9], vcc, s[8:9]
	s_waitcnt vmcnt(0)
	ds_write2_b64 v3, v[6:7], v[8:9] offset1:1
	v_add_u32_e32 v3, 0x4000, v3
	s_andn2_b64 exec, exec, s[8:9]
	s_cbranch_execnz .LBB4_2
.LBB4_3:
	s_or_b64 exec, exec, s[2:3]
	s_cmp_ge_i32 s7, s17
	s_waitcnt lgkmcnt(0)
	s_barrier
	s_cbranch_scc1 .LBB4_23
; %bb.4:
	s_mul_i32 s2, s12, s20
	s_mul_hi_u32 s3, s12, s6
	s_load_dword s21, s[4:5], 0x48
	s_load_dwordx2 s[8:9], s[4:5], 0x50
	s_add_i32 s2, s3, s2
	s_mul_i32 s3, s13, s6
	s_add_i32 s3, s2, s3
	s_mul_i32 s2, s12, s6
	s_lshl_b64 s[2:3], s[2:3], 4
	s_add_u32 s10, s10, s2
	s_addc_u32 s11, s11, s3
	s_cmp_gt_i32 s16, 1
	s_waitcnt lgkmcnt(0)
	s_mul_i32 s20, s8, s20
	s_mul_hi_u32 s22, s8, s6
	s_cselect_b64 s[12:13], -1, 0
	s_add_i32 s20, s22, s20
	s_mul_i32 s9, s9, s6
	s_add_i32 s9, s20, s9
	s_mul_i32 s8, s8, s6
	s_lshl_b64 s[8:9], s[8:9], 4
	s_lshl_b64 s[18:19], s[18:19], 4
	s_add_u32 s6, s8, s18
	s_addc_u32 s8, s9, s19
	s_add_u32 s6, s14, s6
	v_and_b32_e32 v1, 63, v0
	s_addc_u32 s8, s15, s8
	v_cmp_eq_u32_e64 s[2:3], 0, v1
	v_lshrrev_b32_e32 v1, 2, v0
	v_mov_b32_e32 v2, s8
	v_add_co_u32_e32 v3, vcc, s6, v15
	v_addc_co_u32_e32 v2, vcc, 0, v2, vcc
	v_or_b32_e32 v19, 0x8000, v1
	v_mbcnt_lo_u32_b32 v1, -1, 0
	v_add_co_u32_e32 v17, vcc, 8, v3
	v_mbcnt_hi_u32_b32 v20, -1, v1
	v_mov_b32_e32 v1, 0x80
	v_cmp_eq_u32_e64 s[4:5], 0, v0
	v_mov_b32_e32 v16, 0
	v_addc_co_u32_e32 v18, vcc, 0, v2, vcc
	s_mul_i32 s14, s7, s21
	s_lshl_b32 s6, s21, 6
	v_and_b32_e32 v21, 63, v20
	v_lshl_or_b32 v22, v20, 2, v1
	s_branch .LBB4_6
.LBB4_5:                                ;   in Loop: Header=BB4_6 Depth=1
	s_or_b64 exec, exec, s[8:9]
	s_add_i32 s7, s7, 64
	s_add_i32 s14, s14, s6
	s_cmp_ge_i32 s7, s17
	s_cbranch_scc1 .LBB4_23
.LBB4_6:                                ; =>This Loop Header: Depth=1
                                        ;     Child Loop BB4_8 Depth 2
                                        ;     Child Loop BB4_22 Depth 2
	s_ashr_i32 s15, s14, 31
	s_lshl_b64 s[8:9], s[14:15], 4
	v_mov_b32_e32 v6, s9
	v_mov_b32_e32 v3, 0
	;; [unrolled: 1-line block ×3, first 2 shown]
	v_add_co_u32_e32 v5, vcc, s8, v17
	v_mov_b32_e32 v4, 0
	v_mov_b32_e32 v2, 0
	v_addc_co_u32_e32 v6, vcc, v18, v6, vcc
	s_and_saveexec_b64 s[18:19], s[0:1]
	s_cbranch_execz .LBB4_10
; %bb.7:                                ;   in Loop: Header=BB4_6 Depth=1
	v_mov_b32_e32 v3, 0
	v_mov_b32_e32 v8, v6
	;; [unrolled: 1-line block ×4, first 2 shown]
	s_mov_b64 s[20:21], 0
	v_mov_b32_e32 v7, v5
	v_mov_b32_e32 v9, v15
	;; [unrolled: 1-line block ×4, first 2 shown]
.LBB4_8:                                ;   Parent Loop BB4_6 Depth=1
                                        ; =>  This Inner Loop Header: Depth=2
	global_load_dwordx4 v[11:14], v[7:8], off offset:-8
	ds_read_b128 v[23:26], v9
	v_add_u32_e32 v10, 0x400, v10
	v_add_co_u32_e32 v7, vcc, 0x4000, v7
	v_cmp_le_i32_e64 s[8:9], s16, v10
	v_add_u32_e32 v9, 0x4000, v9
	s_or_b64 s[20:21], s[8:9], s[20:21]
	v_addc_co_u32_e32 v8, vcc, 0, v8, vcc
	s_waitcnt vmcnt(0) lgkmcnt(0)
	v_mul_f64 v[27:28], v[13:14], v[25:26]
	v_mul_f64 v[13:14], v[13:14], v[23:24]
	v_fma_f64 v[23:24], v[11:12], v[23:24], v[27:28]
	v_fma_f64 v[11:12], v[11:12], v[25:26], -v[13:14]
	v_add_f64 v[1:2], v[1:2], v[23:24]
	v_add_f64 v[3:4], v[3:4], v[11:12]
	s_andn2_b64 exec, exec, s[20:21]
	s_cbranch_execnz .LBB4_8
; %bb.9:                                ;   in Loop: Header=BB4_6 Depth=1
	s_or_b64 exec, exec, s[20:21]
.LBB4_10:                               ;   in Loop: Header=BB4_6 Depth=1
	s_or_b64 exec, exec, s[18:19]
	s_and_b64 vcc, exec, s[12:13]
	s_cbranch_vccz .LBB4_17
; %bb.11:                               ;   in Loop: Header=BB4_6 Depth=1
	v_cmp_ne_u32_e32 vcc, 63, v21
	v_addc_co_u32_e32 v7, vcc, 0, v20, vcc
	v_lshlrev_b32_e32 v10, 2, v7
	ds_bpermute_b32 v7, v10, v1
	ds_bpermute_b32 v8, v10, v2
	;; [unrolled: 1-line block ×4, first 2 shown]
	v_cmp_gt_u32_e32 vcc, 62, v21
	v_cndmask_b32_e64 v11, 0, 2, vcc
	s_waitcnt lgkmcnt(2)
	v_add_f64 v[7:8], v[1:2], v[7:8]
	v_add_lshl_u32 v14, v11, v20, 2
	s_waitcnt lgkmcnt(0)
	v_add_f64 v[9:10], v[3:4], v[9:10]
	v_cmp_gt_u32_e32 vcc, 60, v21
	ds_bpermute_b32 v11, v14, v7
	ds_bpermute_b32 v12, v14, v8
	ds_bpermute_b32 v13, v14, v9
	ds_bpermute_b32 v14, v14, v10
	s_waitcnt lgkmcnt(2)
	v_add_f64 v[7:8], v[7:8], v[11:12]
	v_cndmask_b32_e64 v11, 0, 4, vcc
	s_waitcnt lgkmcnt(0)
	v_add_f64 v[9:10], v[9:10], v[13:14]
	v_add_lshl_u32 v14, v11, v20, 2
	v_cmp_gt_u32_e32 vcc, 56, v21
	ds_bpermute_b32 v11, v14, v7
	ds_bpermute_b32 v12, v14, v8
	ds_bpermute_b32 v13, v14, v9
	ds_bpermute_b32 v14, v14, v10
	s_waitcnt lgkmcnt(2)
	v_add_f64 v[7:8], v[7:8], v[11:12]
	v_cndmask_b32_e64 v11, 0, 8, vcc
	s_waitcnt lgkmcnt(0)
	v_add_f64 v[9:10], v[9:10], v[13:14]
	v_add_lshl_u32 v14, v11, v20, 2
	;; [unrolled: 11-line block ×3, first 2 shown]
	ds_bpermute_b32 v11, v14, v7
	ds_bpermute_b32 v12, v14, v8
	;; [unrolled: 1-line block ×4, first 2 shown]
	s_waitcnt lgkmcnt(2)
	v_add_f64 v[7:8], v[7:8], v[11:12]
	s_waitcnt lgkmcnt(0)
	v_add_f64 v[9:10], v[9:10], v[13:14]
	ds_bpermute_b32 v11, v22, v7
	ds_bpermute_b32 v12, v22, v8
	;; [unrolled: 1-line block ×4, first 2 shown]
	s_waitcnt lgkmcnt(2)
	v_add_f64 v[7:8], v[7:8], v[11:12]
	s_waitcnt lgkmcnt(0)
	v_add_f64 v[9:10], v[9:10], v[13:14]
	s_and_saveexec_b64 s[8:9], s[2:3]
; %bb.12:                               ;   in Loop: Header=BB4_6 Depth=1
	ds_write2_b64 v19, v[7:8], v[9:10] offset1:1
; %bb.13:                               ;   in Loop: Header=BB4_6 Depth=1
	s_or_b64 exec, exec, s[8:9]
	s_mov_b64 s[18:19], 0
	s_mov_b64 s[8:9], 0
	s_waitcnt vmcnt(0) lgkmcnt(0)
	s_barrier
                                        ; implicit-def: $vgpr11_vgpr12
                                        ; implicit-def: $vgpr13_vgpr14
	s_and_saveexec_b64 s[20:21], s[4:5]
	s_xor_b64 s[20:21], exec, s[20:21]
	s_cbranch_execz .LBB4_15
; %bb.14:                               ;   in Loop: Header=BB4_6 Depth=1
	ds_read_b128 v[11:14], v16 offset:32784
	ds_read_b128 v[23:26], v16 offset:32800
	s_mov_b64 s[8:9], exec
	s_waitcnt lgkmcnt(1)
	v_add_f64 v[7:8], v[7:8], v[11:12]
	v_add_f64 v[9:10], v[9:10], v[13:14]
	s_waitcnt lgkmcnt(0)
	v_add_f64 v[23:24], v[7:8], v[23:24]
	v_add_f64 v[25:26], v[9:10], v[25:26]
	ds_read_b128 v[7:10], v16 offset:32816
	ds_read_b128 v[11:14], v16 offset:32832
	s_waitcnt lgkmcnt(1)
	v_add_f64 v[7:8], v[23:24], v[7:8]
	v_add_f64 v[9:10], v[25:26], v[9:10]
	s_waitcnt lgkmcnt(0)
	v_add_f64 v[23:24], v[7:8], v[11:12]
	v_add_f64 v[25:26], v[9:10], v[13:14]
	ds_read_b128 v[7:10], v16 offset:32848
	ds_read_b128 v[11:14], v16 offset:32864
	;; [unrolled: 8-line block ×6, first 2 shown]
	s_waitcnt lgkmcnt(1)
	v_add_f64 v[7:8], v[23:24], v[7:8]
	v_add_f64 v[9:10], v[25:26], v[9:10]
	s_waitcnt lgkmcnt(0)
	v_add_f64 v[11:12], v[7:8], v[11:12]
	v_add_f64 v[23:24], v[9:10], v[13:14]
	ds_read_b128 v[7:10], v16 offset:33008
	s_waitcnt lgkmcnt(0)
	v_add_f64 v[13:14], v[11:12], v[7:8]
	v_add_f64 v[11:12], v[23:24], v[9:10]
.LBB4_15:                               ;   in Loop: Header=BB4_6 Depth=1
	s_or_b64 exec, exec, s[20:21]
	s_and_b64 vcc, exec, s[18:19]
	s_cbranch_vccnz .LBB4_18
.LBB4_16:                               ;   in Loop: Header=BB4_6 Depth=1
	v_mov_b32_e32 v3, v11
	v_mov_b32_e32 v1, v13
	;; [unrolled: 1-line block ×4, first 2 shown]
	s_and_saveexec_b64 s[18:19], s[8:9]
	s_cbranch_execnz .LBB4_19
	s_branch .LBB4_20
.LBB4_17:                               ;   in Loop: Header=BB4_6 Depth=1
	s_mov_b64 s[8:9], 0
                                        ; implicit-def: $vgpr11_vgpr12
                                        ; implicit-def: $vgpr13_vgpr14
	s_cbranch_execz .LBB4_16
.LBB4_18:                               ;   in Loop: Header=BB4_6 Depth=1
	s_andn2_b64 s[8:9], s[8:9], exec
	s_and_b64 s[18:19], s[4:5], exec
	s_or_b64 s[8:9], s[8:9], s[18:19]
	s_and_saveexec_b64 s[18:19], s[8:9]
.LBB4_19:                               ;   in Loop: Header=BB4_6 Depth=1
	ds_write_b128 v16, v[1:4] offset:32768
.LBB4_20:                               ;   in Loop: Header=BB4_6 Depth=1
	s_or_b64 exec, exec, s[18:19]
	s_waitcnt vmcnt(0) lgkmcnt(0)
	s_barrier
	s_and_saveexec_b64 s[8:9], s[0:1]
	s_cbranch_execz .LBB4_5
; %bb.21:                               ;   in Loop: Header=BB4_6 Depth=1
	global_load_dwordx4 v[7:10], v16, s[10:11]
	ds_read_b128 v[1:4], v16 offset:32768
	s_mov_b64 s[18:19], 0
	s_waitcnt vmcnt(0) lgkmcnt(0)
	v_mul_f64 v[11:12], v[9:10], v[3:4]
	v_mul_f64 v[9:10], v[9:10], v[1:2]
	v_fma_f64 v[1:2], v[1:2], -v[7:8], -v[11:12]
	v_fma_f64 v[3:4], v[7:8], v[3:4], -v[9:10]
	v_mov_b32_e32 v7, v15
	v_mov_b32_e32 v8, v0
.LBB4_22:                               ;   Parent Loop BB4_6 Depth=1
                                        ; =>  This Inner Loop Header: Depth=2
	global_load_dwordx4 v[9:12], v[5:6], off offset:-8
	ds_read_b128 v[23:26], v7
	v_add_u32_e32 v8, 0x400, v8
	v_cmp_le_i32_e32 vcc, s16, v8
	s_or_b64 s[18:19], vcc, s[18:19]
	v_add_u32_e32 v7, 0x4000, v7
	s_waitcnt lgkmcnt(0)
	v_mul_f64 v[13:14], v[3:4], v[25:26]
	v_mul_f64 v[25:26], v[1:2], v[25:26]
	v_fma_f64 v[13:14], v[1:2], v[23:24], -v[13:14]
	v_fma_f64 v[23:24], v[3:4], v[23:24], v[25:26]
	s_waitcnt vmcnt(0)
	v_add_f64 v[9:10], v[9:10], v[13:14]
	v_add_f64 v[11:12], v[23:24], v[11:12]
	global_store_dwordx4 v[5:6], v[9:12], off offset:-8
	v_add_co_u32_e32 v5, vcc, 0x4000, v5
	v_addc_co_u32_e32 v6, vcc, 0, v6, vcc
	s_andn2_b64 exec, exec, s[18:19]
	s_cbranch_execnz .LBB4_22
	s_branch .LBB4_5
.LBB4_23:
	s_endpgm
	.section	.rodata,"a",@progbits
	.p2align	6, 0x0
	.amdhsa_kernel _ZN9rocsolver6v33100L22larf_left_kernel_smallILi1024E19rocblas_complex_numIdEiPS3_EEvT1_S5_T2_lS5_lPKT0_lS6_lS5_l
		.amdhsa_group_segment_fixed_size 49152
		.amdhsa_private_segment_fixed_size 0
		.amdhsa_kernarg_size 88
		.amdhsa_user_sgpr_count 6
		.amdhsa_user_sgpr_private_segment_buffer 1
		.amdhsa_user_sgpr_dispatch_ptr 0
		.amdhsa_user_sgpr_queue_ptr 0
		.amdhsa_user_sgpr_kernarg_segment_ptr 1
		.amdhsa_user_sgpr_dispatch_id 0
		.amdhsa_user_sgpr_flat_scratch_init 0
		.amdhsa_user_sgpr_private_segment_size 0
		.amdhsa_uses_dynamic_stack 0
		.amdhsa_system_sgpr_private_segment_wavefront_offset 0
		.amdhsa_system_sgpr_workgroup_id_x 1
		.amdhsa_system_sgpr_workgroup_id_y 1
		.amdhsa_system_sgpr_workgroup_id_z 0
		.amdhsa_system_sgpr_workgroup_info 0
		.amdhsa_system_vgpr_workitem_id 0
		.amdhsa_next_free_vgpr 49
		.amdhsa_next_free_sgpr 98
		.amdhsa_reserve_vcc 1
		.amdhsa_reserve_flat_scratch 0
		.amdhsa_float_round_mode_32 0
		.amdhsa_float_round_mode_16_64 0
		.amdhsa_float_denorm_mode_32 3
		.amdhsa_float_denorm_mode_16_64 3
		.amdhsa_dx10_clamp 1
		.amdhsa_ieee_mode 1
		.amdhsa_fp16_overflow 0
		.amdhsa_exception_fp_ieee_invalid_op 0
		.amdhsa_exception_fp_denorm_src 0
		.amdhsa_exception_fp_ieee_div_zero 0
		.amdhsa_exception_fp_ieee_overflow 0
		.amdhsa_exception_fp_ieee_underflow 0
		.amdhsa_exception_fp_ieee_inexact 0
		.amdhsa_exception_int_div_zero 0
	.end_amdhsa_kernel
	.section	.text._ZN9rocsolver6v33100L22larf_left_kernel_smallILi1024E19rocblas_complex_numIdEiPS3_EEvT1_S5_T2_lS5_lPKT0_lS6_lS5_l,"axG",@progbits,_ZN9rocsolver6v33100L22larf_left_kernel_smallILi1024E19rocblas_complex_numIdEiPS3_EEvT1_S5_T2_lS5_lPKT0_lS6_lS5_l,comdat
.Lfunc_end4:
	.size	_ZN9rocsolver6v33100L22larf_left_kernel_smallILi1024E19rocblas_complex_numIdEiPS3_EEvT1_S5_T2_lS5_lPKT0_lS6_lS5_l, .Lfunc_end4-_ZN9rocsolver6v33100L22larf_left_kernel_smallILi1024E19rocblas_complex_numIdEiPS3_EEvT1_S5_T2_lS5_lPKT0_lS6_lS5_l
                                        ; -- End function
	.set _ZN9rocsolver6v33100L22larf_left_kernel_smallILi1024E19rocblas_complex_numIdEiPS3_EEvT1_S5_T2_lS5_lPKT0_lS6_lS5_l.num_vgpr, 29
	.set _ZN9rocsolver6v33100L22larf_left_kernel_smallILi1024E19rocblas_complex_numIdEiPS3_EEvT1_S5_T2_lS5_lPKT0_lS6_lS5_l.num_agpr, 0
	.set _ZN9rocsolver6v33100L22larf_left_kernel_smallILi1024E19rocblas_complex_numIdEiPS3_EEvT1_S5_T2_lS5_lPKT0_lS6_lS5_l.numbered_sgpr, 28
	.set _ZN9rocsolver6v33100L22larf_left_kernel_smallILi1024E19rocblas_complex_numIdEiPS3_EEvT1_S5_T2_lS5_lPKT0_lS6_lS5_l.num_named_barrier, 0
	.set _ZN9rocsolver6v33100L22larf_left_kernel_smallILi1024E19rocblas_complex_numIdEiPS3_EEvT1_S5_T2_lS5_lPKT0_lS6_lS5_l.private_seg_size, 0
	.set _ZN9rocsolver6v33100L22larf_left_kernel_smallILi1024E19rocblas_complex_numIdEiPS3_EEvT1_S5_T2_lS5_lPKT0_lS6_lS5_l.uses_vcc, 1
	.set _ZN9rocsolver6v33100L22larf_left_kernel_smallILi1024E19rocblas_complex_numIdEiPS3_EEvT1_S5_T2_lS5_lPKT0_lS6_lS5_l.uses_flat_scratch, 0
	.set _ZN9rocsolver6v33100L22larf_left_kernel_smallILi1024E19rocblas_complex_numIdEiPS3_EEvT1_S5_T2_lS5_lPKT0_lS6_lS5_l.has_dyn_sized_stack, 0
	.set _ZN9rocsolver6v33100L22larf_left_kernel_smallILi1024E19rocblas_complex_numIdEiPS3_EEvT1_S5_T2_lS5_lPKT0_lS6_lS5_l.has_recursion, 0
	.set _ZN9rocsolver6v33100L22larf_left_kernel_smallILi1024E19rocblas_complex_numIdEiPS3_EEvT1_S5_T2_lS5_lPKT0_lS6_lS5_l.has_indirect_call, 0
	.section	.AMDGPU.csdata,"",@progbits
; Kernel info:
; codeLenInByte = 1896
; TotalNumSgprs: 32
; NumVgprs: 29
; ScratchSize: 0
; MemoryBound: 0
; FloatMode: 240
; IeeeMode: 1
; LDSByteSize: 49152 bytes/workgroup (compile time only)
; SGPRBlocks: 12
; VGPRBlocks: 12
; NumSGPRsForWavesPerEU: 102
; NumVGPRsForWavesPerEU: 49
; Occupancy: 4
; WaveLimiterHint : 0
; COMPUTE_PGM_RSRC2:SCRATCH_EN: 0
; COMPUTE_PGM_RSRC2:USER_SGPR: 6
; COMPUTE_PGM_RSRC2:TRAP_HANDLER: 0
; COMPUTE_PGM_RSRC2:TGID_X_EN: 1
; COMPUTE_PGM_RSRC2:TGID_Y_EN: 1
; COMPUTE_PGM_RSRC2:TGID_Z_EN: 0
; COMPUTE_PGM_RSRC2:TIDIG_COMP_CNT: 0
	.section	.text._ZN9rocsolver6v33100L23larf_right_kernel_smallILi64E19rocblas_complex_numIdEiPS3_EEvT1_S5_T2_lS5_lPKT0_lS6_lS5_l,"axG",@progbits,_ZN9rocsolver6v33100L23larf_right_kernel_smallILi64E19rocblas_complex_numIdEiPS3_EEvT1_S5_T2_lS5_lPKT0_lS6_lS5_l,comdat
	.globl	_ZN9rocsolver6v33100L23larf_right_kernel_smallILi64E19rocblas_complex_numIdEiPS3_EEvT1_S5_T2_lS5_lPKT0_lS6_lS5_l ; -- Begin function _ZN9rocsolver6v33100L23larf_right_kernel_smallILi64E19rocblas_complex_numIdEiPS3_EEvT1_S5_T2_lS5_lPKT0_lS6_lS5_l
	.p2align	8
	.type	_ZN9rocsolver6v33100L23larf_right_kernel_smallILi64E19rocblas_complex_numIdEiPS3_EEvT1_S5_T2_lS5_lPKT0_lS6_lS5_l,@function
_ZN9rocsolver6v33100L23larf_right_kernel_smallILi64E19rocblas_complex_numIdEiPS3_EEvT1_S5_T2_lS5_lPKT0_lS6_lS5_l: ; @_ZN9rocsolver6v33100L23larf_right_kernel_smallILi64E19rocblas_complex_numIdEiPS3_EEvT1_S5_T2_lS5_lPKT0_lS6_lS5_l
; %bb.0:
	s_load_dwordx2 s[16:17], s[4:5], 0x0
	s_load_dwordx8 s[8:15], s[4:5], 0x20
	s_load_dwordx2 s[18:19], s[4:5], 0x40
	s_mov_b32 s2, s7
	s_ashr_i32 s3, s6, 31
	s_waitcnt lgkmcnt(0)
	v_cmp_gt_i32_e64 s[0:1], s17, v0
	v_lshlrev_b32_e32 v9, 4, v0
	s_and_saveexec_b64 s[20:21], s[0:1]
	s_cbranch_execz .LBB5_3
; %bb.1:
	s_load_dwordx4 s[24:27], s[4:5], 0x8
	s_load_dword s22, s[4:5], 0x18
	s_mul_i32 s7, s8, s3
	s_mul_hi_u32 s23, s8, s6
	s_add_i32 s7, s23, s7
	s_mul_i32 s9, s9, s6
	s_add_i32 s9, s7, s9
	s_mul_i32 s8, s8, s6
	s_lshl_b64 s[8:9], s[8:9], 4
	s_waitcnt lgkmcnt(0)
	s_add_u32 s7, s24, s8
	s_addc_u32 s23, s25, s9
	s_lshl_b64 s[8:9], s[26:27], 4
	s_add_u32 s7, s7, s8
	v_mul_lo_u32 v1, v0, s22
	s_addc_u32 s23, s23, s9
	s_sub_i32 s8, 1, s17
	s_mul_i32 s8, s22, s8
	s_cmp_lt_i32 s22, 1
	s_cselect_b32 s8, s8, 0
	v_add_u32_e32 v1, s8, v1
	s_lshl_b32 s22, s22, 6
	v_lshlrev_b32_e32 v3, 4, v0
	s_mov_b64 s[8:9], 0
	v_mov_b32_e32 v4, s23
	v_mov_b32_e32 v5, v0
.LBB5_2:                                ; =>This Inner Loop Header: Depth=1
	v_ashrrev_i32_e32 v2, 31, v1
	v_lshlrev_b64 v[6:7], 4, v[1:2]
	v_add_u32_e32 v5, 64, v5
	v_add_co_u32_e32 v6, vcc, s7, v6
	v_addc_co_u32_e32 v7, vcc, v4, v7, vcc
	global_load_dwordx4 v[10:13], v[6:7], off
	v_cmp_le_i32_e32 vcc, s17, v5
	v_add_u32_e32 v1, s22, v1
	s_or_b64 s[8:9], vcc, s[8:9]
	s_waitcnt vmcnt(0)
	ds_write2_b64 v3, v[10:11], v[12:13] offset1:1
	v_add_u32_e32 v3, 0x400, v3
	s_andn2_b64 exec, exec, s[8:9]
	s_cbranch_execnz .LBB5_2
.LBB5_3:
	s_or_b64 exec, exec, s[20:21]
	s_cmp_ge_i32 s2, s16
	s_waitcnt lgkmcnt(0)
	; wave barrier
	s_cbranch_scc1 .LBB5_21
; %bb.4:
	s_load_dwordx2 s[8:9], s[4:5], 0x50
	s_load_dword s20, s[4:5], 0x48
	v_lshrrev_b32_e32 v1, 2, v0
	v_or_b32_e32 v11, 0x8000, v1
	v_mbcnt_lo_u32_b32 v1, -1, 0
	s_waitcnt lgkmcnt(0)
	s_mul_i32 s5, s8, s3
	s_mul_hi_u32 s7, s8, s6
	s_mul_i32 s9, s9, s6
	s_add_i32 s5, s7, s5
	s_mul_i32 s4, s8, s6
	s_add_i32 s5, s5, s9
	s_lshl_b64 s[4:5], s[4:5], 4
	s_add_u32 s7, s14, s4
	s_addc_u32 s8, s15, s5
	s_lshl_b64 s[4:5], s[18:19], 4
	s_add_u32 s14, s7, s4
	s_mul_i32 s3, s12, s3
	s_mul_hi_u32 s4, s12, s6
	s_addc_u32 s15, s8, s5
	s_add_i32 s3, s4, s3
	s_mul_i32 s4, s13, s6
	s_add_i32 s5, s3, s4
	s_mul_i32 s4, s12, s6
	s_lshl_b64 s[4:5], s[4:5], 4
	s_add_u32 s4, s10, s4
	v_mul_lo_u32 v10, v0, s20
	s_addc_u32 s5, s11, s5
	s_cmp_gt_i32 s17, 1
	v_mbcnt_hi_u32_b32 v13, -1, v1
	v_mov_b32_e32 v1, 0x80
	s_cselect_b64 s[6:7], -1, 0
	v_cmp_eq_u32_e64 s[8:9], 0, v0
	s_lshl_b32 s18, s20, 6
	v_mov_b32_e32 v12, 0
	v_and_b32_e32 v14, 63, v13
	v_lshl_or_b32 v15, v13, 2, v1
	s_branch .LBB5_6
.LBB5_5:                                ;   in Loop: Header=BB5_6 Depth=1
	s_or_b64 exec, exec, s[10:11]
	s_add_i32 s2, s2, 64
	s_cmp_ge_i32 s2, s16
	s_cbranch_scc1 .LBB5_21
.LBB5_6:                                ; =>This Loop Header: Depth=1
                                        ;     Child Loop BB5_8 Depth 2
                                        ;     Child Loop BB5_20 Depth 2
	s_ashr_i32 s3, s2, 31
	s_lshl_b64 s[10:11], s[2:3], 4
	s_add_u32 s3, s14, s10
	v_mov_b32_e32 v3, 0
	v_mov_b32_e32 v1, 0
	;; [unrolled: 1-line block ×4, first 2 shown]
	s_addc_u32 s19, s15, s11
	s_and_saveexec_b64 s[10:11], s[0:1]
	s_cbranch_execz .LBB5_10
; %bb.7:                                ;   in Loop: Header=BB5_6 Depth=1
	v_mov_b32_e32 v3, 0
	v_mov_b32_e32 v1, 0
	;; [unrolled: 1-line block ×3, first 2 shown]
	s_mov_b64 s[12:13], 0
	v_mov_b32_e32 v7, s19
	v_mov_b32_e32 v5, v10
	;; [unrolled: 1-line block ×5, first 2 shown]
.LBB5_8:                                ;   Parent Loop BB5_6 Depth=1
                                        ; =>  This Inner Loop Header: Depth=2
	v_ashrrev_i32_e32 v6, 31, v5
	v_lshlrev_b64 v[17:18], 4, v[5:6]
	ds_read_b128 v[21:24], v8
	v_add_co_u32_e32 v17, vcc, s3, v17
	v_addc_co_u32_e32 v18, vcc, v7, v18, vcc
	global_load_dwordx4 v[17:20], v[17:18], off
	v_add_u32_e32 v16, 64, v16
	v_cmp_le_i32_e32 vcc, s17, v16
	v_add_u32_e32 v8, 0x400, v8
	s_or_b64 s[12:13], vcc, s[12:13]
	v_add_u32_e32 v5, s18, v5
	s_waitcnt vmcnt(0) lgkmcnt(0)
	v_mul_f64 v[25:26], v[19:20], v[23:24]
	v_mul_f64 v[23:24], v[17:18], v[23:24]
	v_fma_f64 v[17:18], v[17:18], v[21:22], -v[25:26]
	v_fma_f64 v[19:20], v[19:20], v[21:22], v[23:24]
	v_add_f64 v[1:2], v[1:2], v[17:18]
	v_add_f64 v[3:4], v[3:4], v[19:20]
	s_andn2_b64 exec, exec, s[12:13]
	s_cbranch_execnz .LBB5_8
; %bb.9:                                ;   in Loop: Header=BB5_6 Depth=1
	s_or_b64 exec, exec, s[12:13]
.LBB5_10:                               ;   in Loop: Header=BB5_6 Depth=1
	s_or_b64 exec, exec, s[10:11]
	s_and_b64 vcc, exec, s[6:7]
	s_cbranch_vccz .LBB5_15
; %bb.11:                               ;   in Loop: Header=BB5_6 Depth=1
	v_cmp_ne_u32_e32 vcc, 63, v14
	v_addc_co_u32_e32 v5, vcc, 0, v13, vcc
	v_lshlrev_b32_e32 v8, 2, v5
	ds_bpermute_b32 v5, v8, v1
	ds_bpermute_b32 v6, v8, v2
	;; [unrolled: 1-line block ×4, first 2 shown]
	v_cmp_gt_u32_e32 vcc, 62, v14
	v_cndmask_b32_e64 v16, 0, 2, vcc
	s_waitcnt lgkmcnt(2)
	v_add_f64 v[5:6], v[1:2], v[5:6]
	v_add_lshl_u32 v19, v16, v13, 2
	s_waitcnt lgkmcnt(0)
	v_add_f64 v[7:8], v[3:4], v[7:8]
	v_cmp_gt_u32_e32 vcc, 60, v14
	ds_bpermute_b32 v16, v19, v5
	ds_bpermute_b32 v17, v19, v6
	ds_bpermute_b32 v18, v19, v7
	ds_bpermute_b32 v19, v19, v8
	s_waitcnt lgkmcnt(2)
	v_add_f64 v[5:6], v[5:6], v[16:17]
	v_cndmask_b32_e64 v16, 0, 4, vcc
	s_waitcnt lgkmcnt(0)
	v_add_f64 v[7:8], v[7:8], v[18:19]
	v_add_lshl_u32 v19, v16, v13, 2
	v_cmp_gt_u32_e32 vcc, 56, v14
	ds_bpermute_b32 v16, v19, v5
	ds_bpermute_b32 v17, v19, v6
	ds_bpermute_b32 v18, v19, v7
	ds_bpermute_b32 v19, v19, v8
	s_waitcnt lgkmcnt(2)
	v_add_f64 v[5:6], v[5:6], v[16:17]
	v_cndmask_b32_e64 v16, 0, 8, vcc
	s_waitcnt lgkmcnt(0)
	v_add_f64 v[7:8], v[7:8], v[18:19]
	v_add_lshl_u32 v19, v16, v13, 2
	;; [unrolled: 11-line block ×3, first 2 shown]
	ds_bpermute_b32 v16, v19, v5
	ds_bpermute_b32 v17, v19, v6
	;; [unrolled: 1-line block ×4, first 2 shown]
	s_waitcnt lgkmcnt(2)
	v_add_f64 v[5:6], v[5:6], v[16:17]
	s_waitcnt lgkmcnt(0)
	v_add_f64 v[7:8], v[7:8], v[18:19]
	ds_bpermute_b32 v16, v15, v5
	ds_bpermute_b32 v17, v15, v6
	;; [unrolled: 1-line block ×4, first 2 shown]
	s_waitcnt lgkmcnt(2)
	v_add_f64 v[5:6], v[5:6], v[16:17]
	s_waitcnt lgkmcnt(0)
	v_add_f64 v[7:8], v[7:8], v[18:19]
	s_and_saveexec_b64 s[10:11], s[8:9]
; %bb.12:                               ;   in Loop: Header=BB5_6 Depth=1
	ds_write2_b64 v11, v[5:6], v[7:8] offset1:1
; %bb.13:                               ;   in Loop: Header=BB5_6 Depth=1
	s_or_b64 exec, exec, s[10:11]
	s_waitcnt lgkmcnt(0)
	; wave barrier
	s_mov_b64 s[10:11], s[8:9]
.LBB5_14:                               ;   in Loop: Header=BB5_6 Depth=1
	v_mov_b32_e32 v3, v7
	v_mov_b32_e32 v1, v5
	;; [unrolled: 1-line block ×4, first 2 shown]
	s_and_saveexec_b64 s[12:13], s[10:11]
	s_cbranch_execnz .LBB5_17
	s_branch .LBB5_18
.LBB5_15:                               ;   in Loop: Header=BB5_6 Depth=1
	s_mov_b64 s[10:11], 0
                                        ; implicit-def: $vgpr7_vgpr8
                                        ; implicit-def: $vgpr5_vgpr6
	s_cbranch_execz .LBB5_14
; %bb.16:                               ;   in Loop: Header=BB5_6 Depth=1
	s_andn2_b64 s[10:11], s[10:11], exec
	s_and_b64 s[12:13], s[8:9], exec
	s_or_b64 s[10:11], s[10:11], s[12:13]
	s_and_saveexec_b64 s[12:13], s[10:11]
.LBB5_17:                               ;   in Loop: Header=BB5_6 Depth=1
	ds_write_b128 v12, v[1:4] offset:32768
.LBB5_18:                               ;   in Loop: Header=BB5_6 Depth=1
	s_or_b64 exec, exec, s[12:13]
	s_waitcnt lgkmcnt(0)
	; wave barrier
	s_and_saveexec_b64 s[10:11], s[0:1]
	s_cbranch_execz .LBB5_5
; %bb.19:                               ;   in Loop: Header=BB5_6 Depth=1
	global_load_dwordx4 v[1:4], v12, s[4:5]
	ds_read_b128 v[5:8], v12 offset:32768
	s_mov_b64 s[12:13], 0
	s_waitcnt vmcnt(0) lgkmcnt(0)
	v_mul_f64 v[16:17], v[1:2], v[5:6]
	v_mul_f64 v[18:19], v[1:2], v[7:8]
	v_fma_f64 v[1:2], v[3:4], v[7:8], -v[16:17]
	v_fma_f64 v[3:4], v[5:6], -v[3:4], -v[18:19]
	v_mov_b32_e32 v7, s19
	v_mov_b32_e32 v8, v9
	;; [unrolled: 1-line block ×4, first 2 shown]
.LBB5_20:                               ;   Parent Loop BB5_6 Depth=1
                                        ; =>  This Inner Loop Header: Depth=2
	v_ashrrev_i32_e32 v6, 31, v5
	v_lshlrev_b64 v[17:18], 4, v[5:6]
	ds_read_b128 v[21:24], v8
	v_add_co_u32_e32 v25, vcc, s3, v17
	v_addc_co_u32_e32 v26, vcc, v7, v18, vcc
	global_load_dwordx4 v[17:20], v[25:26], off
	s_waitcnt lgkmcnt(0)
	v_mul_f64 v[27:28], v[3:4], v[23:24]
	v_mul_f64 v[23:24], v[1:2], v[23:24]
	v_add_u32_e32 v16, 64, v16
	v_cmp_le_i32_e32 vcc, s17, v16
	v_add_u32_e32 v8, 0x400, v8
	v_add_u32_e32 v5, s18, v5
	s_or_b64 s[12:13], vcc, s[12:13]
	v_fma_f64 v[27:28], v[1:2], v[21:22], v[27:28]
	v_fma_f64 v[21:22], v[3:4], v[21:22], -v[23:24]
	s_waitcnt vmcnt(0)
	v_add_f64 v[17:18], v[17:18], v[27:28]
	v_add_f64 v[19:20], v[21:22], v[19:20]
	global_store_dwordx4 v[25:26], v[17:20], off
	s_andn2_b64 exec, exec, s[12:13]
	s_cbranch_execnz .LBB5_20
	s_branch .LBB5_5
.LBB5_21:
	s_endpgm
	.section	.rodata,"a",@progbits
	.p2align	6, 0x0
	.amdhsa_kernel _ZN9rocsolver6v33100L23larf_right_kernel_smallILi64E19rocblas_complex_numIdEiPS3_EEvT1_S5_T2_lS5_lPKT0_lS6_lS5_l
		.amdhsa_group_segment_fixed_size 32784
		.amdhsa_private_segment_fixed_size 0
		.amdhsa_kernarg_size 88
		.amdhsa_user_sgpr_count 6
		.amdhsa_user_sgpr_private_segment_buffer 1
		.amdhsa_user_sgpr_dispatch_ptr 0
		.amdhsa_user_sgpr_queue_ptr 0
		.amdhsa_user_sgpr_kernarg_segment_ptr 1
		.amdhsa_user_sgpr_dispatch_id 0
		.amdhsa_user_sgpr_flat_scratch_init 0
		.amdhsa_user_sgpr_private_segment_size 0
		.amdhsa_uses_dynamic_stack 0
		.amdhsa_system_sgpr_private_segment_wavefront_offset 0
		.amdhsa_system_sgpr_workgroup_id_x 1
		.amdhsa_system_sgpr_workgroup_id_y 1
		.amdhsa_system_sgpr_workgroup_id_z 0
		.amdhsa_system_sgpr_workgroup_info 0
		.amdhsa_system_vgpr_workitem_id 0
		.amdhsa_next_free_vgpr 129
		.amdhsa_next_free_sgpr 98
		.amdhsa_reserve_vcc 1
		.amdhsa_reserve_flat_scratch 0
		.amdhsa_float_round_mode_32 0
		.amdhsa_float_round_mode_16_64 0
		.amdhsa_float_denorm_mode_32 3
		.amdhsa_float_denorm_mode_16_64 3
		.amdhsa_dx10_clamp 1
		.amdhsa_ieee_mode 1
		.amdhsa_fp16_overflow 0
		.amdhsa_exception_fp_ieee_invalid_op 0
		.amdhsa_exception_fp_denorm_src 0
		.amdhsa_exception_fp_ieee_div_zero 0
		.amdhsa_exception_fp_ieee_overflow 0
		.amdhsa_exception_fp_ieee_underflow 0
		.amdhsa_exception_fp_ieee_inexact 0
		.amdhsa_exception_int_div_zero 0
	.end_amdhsa_kernel
	.section	.text._ZN9rocsolver6v33100L23larf_right_kernel_smallILi64E19rocblas_complex_numIdEiPS3_EEvT1_S5_T2_lS5_lPKT0_lS6_lS5_l,"axG",@progbits,_ZN9rocsolver6v33100L23larf_right_kernel_smallILi64E19rocblas_complex_numIdEiPS3_EEvT1_S5_T2_lS5_lPKT0_lS6_lS5_l,comdat
.Lfunc_end5:
	.size	_ZN9rocsolver6v33100L23larf_right_kernel_smallILi64E19rocblas_complex_numIdEiPS3_EEvT1_S5_T2_lS5_lPKT0_lS6_lS5_l, .Lfunc_end5-_ZN9rocsolver6v33100L23larf_right_kernel_smallILi64E19rocblas_complex_numIdEiPS3_EEvT1_S5_T2_lS5_lPKT0_lS6_lS5_l
                                        ; -- End function
	.set _ZN9rocsolver6v33100L23larf_right_kernel_smallILi64E19rocblas_complex_numIdEiPS3_EEvT1_S5_T2_lS5_lPKT0_lS6_lS5_l.num_vgpr, 29
	.set _ZN9rocsolver6v33100L23larf_right_kernel_smallILi64E19rocblas_complex_numIdEiPS3_EEvT1_S5_T2_lS5_lPKT0_lS6_lS5_l.num_agpr, 0
	.set _ZN9rocsolver6v33100L23larf_right_kernel_smallILi64E19rocblas_complex_numIdEiPS3_EEvT1_S5_T2_lS5_lPKT0_lS6_lS5_l.numbered_sgpr, 28
	.set _ZN9rocsolver6v33100L23larf_right_kernel_smallILi64E19rocblas_complex_numIdEiPS3_EEvT1_S5_T2_lS5_lPKT0_lS6_lS5_l.num_named_barrier, 0
	.set _ZN9rocsolver6v33100L23larf_right_kernel_smallILi64E19rocblas_complex_numIdEiPS3_EEvT1_S5_T2_lS5_lPKT0_lS6_lS5_l.private_seg_size, 0
	.set _ZN9rocsolver6v33100L23larf_right_kernel_smallILi64E19rocblas_complex_numIdEiPS3_EEvT1_S5_T2_lS5_lPKT0_lS6_lS5_l.uses_vcc, 1
	.set _ZN9rocsolver6v33100L23larf_right_kernel_smallILi64E19rocblas_complex_numIdEiPS3_EEvT1_S5_T2_lS5_lPKT0_lS6_lS5_l.uses_flat_scratch, 0
	.set _ZN9rocsolver6v33100L23larf_right_kernel_smallILi64E19rocblas_complex_numIdEiPS3_EEvT1_S5_T2_lS5_lPKT0_lS6_lS5_l.has_dyn_sized_stack, 0
	.set _ZN9rocsolver6v33100L23larf_right_kernel_smallILi64E19rocblas_complex_numIdEiPS3_EEvT1_S5_T2_lS5_lPKT0_lS6_lS5_l.has_recursion, 0
	.set _ZN9rocsolver6v33100L23larf_right_kernel_smallILi64E19rocblas_complex_numIdEiPS3_EEvT1_S5_T2_lS5_lPKT0_lS6_lS5_l.has_indirect_call, 0
	.section	.AMDGPU.csdata,"",@progbits
; Kernel info:
; codeLenInByte = 1416
; TotalNumSgprs: 32
; NumVgprs: 29
; ScratchSize: 0
; MemoryBound: 0
; FloatMode: 240
; IeeeMode: 1
; LDSByteSize: 32784 bytes/workgroup (compile time only)
; SGPRBlocks: 12
; VGPRBlocks: 32
; NumSGPRsForWavesPerEU: 102
; NumVGPRsForWavesPerEU: 129
; Occupancy: 1
; WaveLimiterHint : 0
; COMPUTE_PGM_RSRC2:SCRATCH_EN: 0
; COMPUTE_PGM_RSRC2:USER_SGPR: 6
; COMPUTE_PGM_RSRC2:TRAP_HANDLER: 0
; COMPUTE_PGM_RSRC2:TGID_X_EN: 1
; COMPUTE_PGM_RSRC2:TGID_Y_EN: 1
; COMPUTE_PGM_RSRC2:TGID_Z_EN: 0
; COMPUTE_PGM_RSRC2:TIDIG_COMP_CNT: 0
	.section	.text._ZN9rocsolver6v33100L23larf_right_kernel_smallILi128E19rocblas_complex_numIdEiPS3_EEvT1_S5_T2_lS5_lPKT0_lS6_lS5_l,"axG",@progbits,_ZN9rocsolver6v33100L23larf_right_kernel_smallILi128E19rocblas_complex_numIdEiPS3_EEvT1_S5_T2_lS5_lPKT0_lS6_lS5_l,comdat
	.globl	_ZN9rocsolver6v33100L23larf_right_kernel_smallILi128E19rocblas_complex_numIdEiPS3_EEvT1_S5_T2_lS5_lPKT0_lS6_lS5_l ; -- Begin function _ZN9rocsolver6v33100L23larf_right_kernel_smallILi128E19rocblas_complex_numIdEiPS3_EEvT1_S5_T2_lS5_lPKT0_lS6_lS5_l
	.p2align	8
	.type	_ZN9rocsolver6v33100L23larf_right_kernel_smallILi128E19rocblas_complex_numIdEiPS3_EEvT1_S5_T2_lS5_lPKT0_lS6_lS5_l,@function
_ZN9rocsolver6v33100L23larf_right_kernel_smallILi128E19rocblas_complex_numIdEiPS3_EEvT1_S5_T2_lS5_lPKT0_lS6_lS5_l: ; @_ZN9rocsolver6v33100L23larf_right_kernel_smallILi128E19rocblas_complex_numIdEiPS3_EEvT1_S5_T2_lS5_lPKT0_lS6_lS5_l
; %bb.0:
	s_load_dwordx2 s[18:19], s[4:5], 0x0
	s_load_dwordx8 s[8:15], s[4:5], 0x20
	s_load_dwordx2 s[2:3], s[4:5], 0x40
	s_mov_b32 s16, s7
	s_ashr_i32 s7, s6, 31
	s_waitcnt lgkmcnt(0)
	v_cmp_gt_i32_e64 s[0:1], s19, v0
	v_lshlrev_b32_e32 v13, 4, v0
	s_and_saveexec_b64 s[20:21], s[0:1]
	s_cbranch_execz .LBB6_3
; %bb.1:
	s_load_dwordx4 s[24:27], s[4:5], 0x8
	s_load_dword s22, s[4:5], 0x18
	s_mul_i32 s17, s8, s7
	s_mul_hi_u32 s23, s8, s6
	s_add_i32 s17, s23, s17
	s_mul_i32 s9, s9, s6
	s_add_i32 s9, s17, s9
	s_mul_i32 s8, s8, s6
	s_lshl_b64 s[8:9], s[8:9], 4
	s_waitcnt lgkmcnt(0)
	s_add_u32 s17, s24, s8
	s_addc_u32 s23, s25, s9
	s_lshl_b64 s[8:9], s[26:27], 4
	s_add_u32 s17, s17, s8
	v_mul_lo_u32 v1, v0, s22
	s_addc_u32 s23, s23, s9
	s_sub_i32 s8, 1, s19
	s_mul_i32 s8, s22, s8
	s_cmp_lt_i32 s22, 1
	s_cselect_b32 s8, s8, 0
	v_add_u32_e32 v1, s8, v1
	s_lshl_b32 s22, s22, 7
	v_lshlrev_b32_e32 v3, 4, v0
	s_mov_b64 s[8:9], 0
	v_mov_b32_e32 v4, s23
	v_mov_b32_e32 v5, v0
.LBB6_2:                                ; =>This Inner Loop Header: Depth=1
	v_ashrrev_i32_e32 v2, 31, v1
	v_lshlrev_b64 v[6:7], 4, v[1:2]
	v_add_u32_e32 v5, 0x80, v5
	v_add_co_u32_e32 v6, vcc, s17, v6
	v_addc_co_u32_e32 v7, vcc, v4, v7, vcc
	global_load_dwordx4 v[6:9], v[6:7], off
	v_cmp_le_i32_e32 vcc, s19, v5
	v_add_u32_e32 v1, s22, v1
	s_or_b64 s[8:9], vcc, s[8:9]
	s_waitcnt vmcnt(0)
	ds_write2_b64 v3, v[6:7], v[8:9] offset1:1
	v_add_u32_e32 v3, 0x800, v3
	s_andn2_b64 exec, exec, s[8:9]
	s_cbranch_execnz .LBB6_2
.LBB6_3:
	s_or_b64 exec, exec, s[20:21]
	s_cmp_ge_i32 s16, s18
	s_waitcnt lgkmcnt(0)
	s_barrier
	s_cbranch_scc1 .LBB6_23
; %bb.4:
	s_load_dwordx2 s[8:9], s[4:5], 0x50
	s_load_dword s17, s[4:5], 0x48
	v_and_b32_e32 v1, 63, v0
	v_mov_b32_e32 v16, 0
	s_waitcnt lgkmcnt(0)
	s_mul_i32 s5, s8, s7
	s_mul_hi_u32 s20, s8, s6
	s_mul_i32 s9, s9, s6
	s_add_i32 s5, s20, s5
	s_mul_i32 s4, s8, s6
	s_add_i32 s5, s5, s9
	s_lshl_b64 s[4:5], s[4:5], 4
	s_add_u32 s4, s14, s4
	s_addc_u32 s5, s15, s5
	s_lshl_b64 s[2:3], s[2:3], 4
	s_add_u32 s20, s4, s2
	s_addc_u32 s21, s5, s3
	s_mul_i32 s2, s12, s7
	s_mul_hi_u32 s3, s12, s6
	s_add_i32 s2, s3, s2
	s_mul_i32 s3, s13, s6
	s_add_i32 s3, s2, s3
	s_mul_i32 s2, s12, s6
	s_lshl_b64 s[2:3], s[2:3], 4
	s_add_u32 s6, s10, s2
	s_addc_u32 s7, s11, s3
	v_cmp_eq_u32_e64 s[2:3], 0, v1
	v_lshrrev_b32_e32 v1, 2, v0
	v_mul_lo_u32 v14, v0, s17
	v_or_b32_e32 v15, 0x8000, v1
	v_mbcnt_lo_u32_b32 v1, -1, 0
	s_cmp_gt_i32 s19, 1
	v_mbcnt_hi_u32_b32 v17, -1, v1
	v_mov_b32_e32 v1, 0x80
	s_cselect_b64 s[8:9], -1, 0
	v_cmp_eq_u32_e64 s[4:5], 0, v0
	s_lshl_b32 s22, s17, 7
	v_and_b32_e32 v18, 63, v17
	v_lshl_or_b32 v19, v17, 2, v1
	s_branch .LBB6_6
.LBB6_5:                                ;   in Loop: Header=BB6_6 Depth=1
	s_or_b64 exec, exec, s[10:11]
	s_add_i32 s16, s16, 64
	s_cmp_ge_i32 s16, s18
	s_cbranch_scc1 .LBB6_23
.LBB6_6:                                ; =>This Loop Header: Depth=1
                                        ;     Child Loop BB6_8 Depth 2
                                        ;     Child Loop BB6_22 Depth 2
	s_ashr_i32 s17, s16, 31
	s_lshl_b64 s[10:11], s[16:17], 4
	s_add_u32 s17, s20, s10
	v_mov_b32_e32 v3, 0
	v_mov_b32_e32 v1, 0
	;; [unrolled: 1-line block ×4, first 2 shown]
	s_addc_u32 s23, s21, s11
	s_and_saveexec_b64 s[10:11], s[0:1]
	s_cbranch_execz .LBB6_10
; %bb.7:                                ;   in Loop: Header=BB6_6 Depth=1
	v_mov_b32_e32 v3, 0
	v_mov_b32_e32 v1, 0
	;; [unrolled: 1-line block ×3, first 2 shown]
	s_mov_b64 s[12:13], 0
	v_mov_b32_e32 v7, s23
	v_mov_b32_e32 v5, v14
	;; [unrolled: 1-line block ×5, first 2 shown]
.LBB6_8:                                ;   Parent Loop BB6_6 Depth=1
                                        ; =>  This Inner Loop Header: Depth=2
	v_ashrrev_i32_e32 v6, 31, v5
	v_lshlrev_b64 v[10:11], 4, v[5:6]
	ds_read_b128 v[24:27], v8
	v_add_co_u32_e32 v10, vcc, s17, v10
	v_addc_co_u32_e32 v11, vcc, v7, v11, vcc
	global_load_dwordx4 v[20:23], v[10:11], off
	v_add_u32_e32 v9, 0x80, v9
	v_cmp_le_i32_e32 vcc, s19, v9
	v_add_u32_e32 v8, 0x800, v8
	s_or_b64 s[12:13], vcc, s[12:13]
	v_add_u32_e32 v5, s22, v5
	s_waitcnt vmcnt(0) lgkmcnt(0)
	v_mul_f64 v[10:11], v[22:23], v[26:27]
	v_mul_f64 v[26:27], v[20:21], v[26:27]
	v_fma_f64 v[10:11], v[20:21], v[24:25], -v[10:11]
	v_fma_f64 v[20:21], v[22:23], v[24:25], v[26:27]
	v_add_f64 v[1:2], v[1:2], v[10:11]
	v_add_f64 v[3:4], v[3:4], v[20:21]
	s_andn2_b64 exec, exec, s[12:13]
	s_cbranch_execnz .LBB6_8
; %bb.9:                                ;   in Loop: Header=BB6_6 Depth=1
	s_or_b64 exec, exec, s[12:13]
.LBB6_10:                               ;   in Loop: Header=BB6_6 Depth=1
	s_or_b64 exec, exec, s[10:11]
	s_and_b64 vcc, exec, s[8:9]
	s_cbranch_vccz .LBB6_17
; %bb.11:                               ;   in Loop: Header=BB6_6 Depth=1
	v_cmp_ne_u32_e32 vcc, 63, v18
	v_addc_co_u32_e32 v5, vcc, 0, v17, vcc
	v_lshlrev_b32_e32 v8, 2, v5
	ds_bpermute_b32 v5, v8, v1
	ds_bpermute_b32 v6, v8, v2
	;; [unrolled: 1-line block ×4, first 2 shown]
	v_cmp_gt_u32_e32 vcc, 62, v18
	v_cndmask_b32_e64 v9, 0, 2, vcc
	s_waitcnt lgkmcnt(2)
	v_add_f64 v[5:6], v[1:2], v[5:6]
	v_add_lshl_u32 v12, v9, v17, 2
	s_waitcnt lgkmcnt(0)
	v_add_f64 v[7:8], v[3:4], v[7:8]
	v_cmp_gt_u32_e32 vcc, 60, v18
	ds_bpermute_b32 v9, v12, v5
	ds_bpermute_b32 v10, v12, v6
	ds_bpermute_b32 v11, v12, v7
	ds_bpermute_b32 v12, v12, v8
	s_waitcnt lgkmcnt(2)
	v_add_f64 v[5:6], v[5:6], v[9:10]
	v_cndmask_b32_e64 v9, 0, 4, vcc
	s_waitcnt lgkmcnt(0)
	v_add_f64 v[7:8], v[7:8], v[11:12]
	v_add_lshl_u32 v12, v9, v17, 2
	v_cmp_gt_u32_e32 vcc, 56, v18
	ds_bpermute_b32 v9, v12, v5
	ds_bpermute_b32 v10, v12, v6
	ds_bpermute_b32 v11, v12, v7
	ds_bpermute_b32 v12, v12, v8
	s_waitcnt lgkmcnt(2)
	v_add_f64 v[5:6], v[5:6], v[9:10]
	v_cndmask_b32_e64 v9, 0, 8, vcc
	s_waitcnt lgkmcnt(0)
	v_add_f64 v[7:8], v[7:8], v[11:12]
	v_add_lshl_u32 v12, v9, v17, 2
	;; [unrolled: 11-line block ×3, first 2 shown]
	ds_bpermute_b32 v9, v12, v5
	ds_bpermute_b32 v10, v12, v6
	;; [unrolled: 1-line block ×4, first 2 shown]
	s_waitcnt lgkmcnt(2)
	v_add_f64 v[5:6], v[5:6], v[9:10]
	s_waitcnt lgkmcnt(0)
	v_add_f64 v[9:10], v[7:8], v[11:12]
	ds_bpermute_b32 v7, v19, v5
	ds_bpermute_b32 v8, v19, v6
	;; [unrolled: 1-line block ×4, first 2 shown]
	s_waitcnt lgkmcnt(2)
	v_add_f64 v[7:8], v[5:6], v[7:8]
	s_waitcnt lgkmcnt(0)
	v_add_f64 v[11:12], v[9:10], v[11:12]
	s_and_saveexec_b64 s[10:11], s[2:3]
; %bb.12:                               ;   in Loop: Header=BB6_6 Depth=1
	ds_write2_b64 v15, v[7:8], v[11:12] offset1:1
; %bb.13:                               ;   in Loop: Header=BB6_6 Depth=1
	s_or_b64 exec, exec, s[10:11]
	s_mov_b64 s[12:13], 0
	s_mov_b64 s[10:11], 0
	s_waitcnt vmcnt(0) lgkmcnt(0)
	s_barrier
                                        ; implicit-def: $vgpr5_vgpr6
                                        ; implicit-def: $vgpr9_vgpr10
	s_and_saveexec_b64 s[14:15], s[4:5]
	s_xor_b64 s[14:15], exec, s[14:15]
	s_cbranch_execz .LBB6_15
; %bb.14:                               ;   in Loop: Header=BB6_6 Depth=1
	ds_read_b128 v[20:23], v16 offset:32784
	s_mov_b64 s[10:11], exec
	s_waitcnt lgkmcnt(0)
	v_add_f64 v[5:6], v[11:12], v[22:23]
	v_add_f64 v[9:10], v[7:8], v[20:21]
.LBB6_15:                               ;   in Loop: Header=BB6_6 Depth=1
	s_or_b64 exec, exec, s[14:15]
	s_and_b64 vcc, exec, s[12:13]
	s_cbranch_vccnz .LBB6_18
.LBB6_16:                               ;   in Loop: Header=BB6_6 Depth=1
	v_mov_b32_e32 v3, v5
	v_mov_b32_e32 v1, v9
	;; [unrolled: 1-line block ×4, first 2 shown]
	s_and_saveexec_b64 s[12:13], s[10:11]
	s_cbranch_execnz .LBB6_19
	s_branch .LBB6_20
.LBB6_17:                               ;   in Loop: Header=BB6_6 Depth=1
	s_mov_b64 s[10:11], 0
                                        ; implicit-def: $vgpr5_vgpr6
                                        ; implicit-def: $vgpr9_vgpr10
	s_cbranch_execz .LBB6_16
.LBB6_18:                               ;   in Loop: Header=BB6_6 Depth=1
	s_andn2_b64 s[10:11], s[10:11], exec
	s_and_b64 s[12:13], s[4:5], exec
	s_or_b64 s[10:11], s[10:11], s[12:13]
	s_and_saveexec_b64 s[12:13], s[10:11]
.LBB6_19:                               ;   in Loop: Header=BB6_6 Depth=1
	ds_write_b128 v16, v[1:4] offset:32768
.LBB6_20:                               ;   in Loop: Header=BB6_6 Depth=1
	s_or_b64 exec, exec, s[12:13]
	s_waitcnt vmcnt(0) lgkmcnt(0)
	s_barrier
	s_and_saveexec_b64 s[10:11], s[0:1]
	s_cbranch_execz .LBB6_5
; %bb.21:                               ;   in Loop: Header=BB6_6 Depth=1
	global_load_dwordx4 v[1:4], v16, s[6:7]
	ds_read_b128 v[5:8], v16 offset:32768
	s_mov_b64 s[12:13], 0
	s_waitcnt vmcnt(0) lgkmcnt(0)
	v_mul_f64 v[9:10], v[1:2], v[5:6]
	v_mul_f64 v[11:12], v[1:2], v[7:8]
	v_fma_f64 v[1:2], v[3:4], v[7:8], -v[9:10]
	v_fma_f64 v[3:4], v[5:6], -v[3:4], -v[11:12]
	v_mov_b32_e32 v7, s23
	v_mov_b32_e32 v8, v13
	;; [unrolled: 1-line block ×4, first 2 shown]
.LBB6_22:                               ;   Parent Loop BB6_6 Depth=1
                                        ; =>  This Inner Loop Header: Depth=2
	v_ashrrev_i32_e32 v6, 31, v5
	v_lshlrev_b64 v[10:11], 4, v[5:6]
	ds_read_b128 v[24:27], v8
	v_add_co_u32_e32 v10, vcc, s17, v10
	v_addc_co_u32_e32 v11, vcc, v7, v11, vcc
	global_load_dwordx4 v[20:23], v[10:11], off
	s_waitcnt lgkmcnt(0)
	v_mul_f64 v[28:29], v[3:4], v[26:27]
	v_mul_f64 v[26:27], v[1:2], v[26:27]
	v_add_u32_e32 v9, 0x80, v9
	v_cmp_le_i32_e32 vcc, s19, v9
	v_add_u32_e32 v8, 0x800, v8
	v_add_u32_e32 v5, s22, v5
	s_or_b64 s[12:13], vcc, s[12:13]
	v_fma_f64 v[28:29], v[1:2], v[24:25], v[28:29]
	v_fma_f64 v[24:25], v[3:4], v[24:25], -v[26:27]
	s_waitcnt vmcnt(0)
	v_add_f64 v[20:21], v[20:21], v[28:29]
	v_add_f64 v[22:23], v[24:25], v[22:23]
	global_store_dwordx4 v[10:11], v[20:23], off
	s_andn2_b64 exec, exec, s[12:13]
	s_cbranch_execnz .LBB6_22
	s_branch .LBB6_5
.LBB6_23:
	s_endpgm
	.section	.rodata,"a",@progbits
	.p2align	6, 0x0
	.amdhsa_kernel _ZN9rocsolver6v33100L23larf_right_kernel_smallILi128E19rocblas_complex_numIdEiPS3_EEvT1_S5_T2_lS5_lPKT0_lS6_lS5_l
		.amdhsa_group_segment_fixed_size 32800
		.amdhsa_private_segment_fixed_size 0
		.amdhsa_kernarg_size 88
		.amdhsa_user_sgpr_count 6
		.amdhsa_user_sgpr_private_segment_buffer 1
		.amdhsa_user_sgpr_dispatch_ptr 0
		.amdhsa_user_sgpr_queue_ptr 0
		.amdhsa_user_sgpr_kernarg_segment_ptr 1
		.amdhsa_user_sgpr_dispatch_id 0
		.amdhsa_user_sgpr_flat_scratch_init 0
		.amdhsa_user_sgpr_private_segment_size 0
		.amdhsa_uses_dynamic_stack 0
		.amdhsa_system_sgpr_private_segment_wavefront_offset 0
		.amdhsa_system_sgpr_workgroup_id_x 1
		.amdhsa_system_sgpr_workgroup_id_y 1
		.amdhsa_system_sgpr_workgroup_id_z 0
		.amdhsa_system_sgpr_workgroup_info 0
		.amdhsa_system_vgpr_workitem_id 0
		.amdhsa_next_free_vgpr 129
		.amdhsa_next_free_sgpr 98
		.amdhsa_reserve_vcc 1
		.amdhsa_reserve_flat_scratch 0
		.amdhsa_float_round_mode_32 0
		.amdhsa_float_round_mode_16_64 0
		.amdhsa_float_denorm_mode_32 3
		.amdhsa_float_denorm_mode_16_64 3
		.amdhsa_dx10_clamp 1
		.amdhsa_ieee_mode 1
		.amdhsa_fp16_overflow 0
		.amdhsa_exception_fp_ieee_invalid_op 0
		.amdhsa_exception_fp_denorm_src 0
		.amdhsa_exception_fp_ieee_div_zero 0
		.amdhsa_exception_fp_ieee_overflow 0
		.amdhsa_exception_fp_ieee_underflow 0
		.amdhsa_exception_fp_ieee_inexact 0
		.amdhsa_exception_int_div_zero 0
	.end_amdhsa_kernel
	.section	.text._ZN9rocsolver6v33100L23larf_right_kernel_smallILi128E19rocblas_complex_numIdEiPS3_EEvT1_S5_T2_lS5_lPKT0_lS6_lS5_l,"axG",@progbits,_ZN9rocsolver6v33100L23larf_right_kernel_smallILi128E19rocblas_complex_numIdEiPS3_EEvT1_S5_T2_lS5_lPKT0_lS6_lS5_l,comdat
.Lfunc_end6:
	.size	_ZN9rocsolver6v33100L23larf_right_kernel_smallILi128E19rocblas_complex_numIdEiPS3_EEvT1_S5_T2_lS5_lPKT0_lS6_lS5_l, .Lfunc_end6-_ZN9rocsolver6v33100L23larf_right_kernel_smallILi128E19rocblas_complex_numIdEiPS3_EEvT1_S5_T2_lS5_lPKT0_lS6_lS5_l
                                        ; -- End function
	.set _ZN9rocsolver6v33100L23larf_right_kernel_smallILi128E19rocblas_complex_numIdEiPS3_EEvT1_S5_T2_lS5_lPKT0_lS6_lS5_l.num_vgpr, 30
	.set _ZN9rocsolver6v33100L23larf_right_kernel_smallILi128E19rocblas_complex_numIdEiPS3_EEvT1_S5_T2_lS5_lPKT0_lS6_lS5_l.num_agpr, 0
	.set _ZN9rocsolver6v33100L23larf_right_kernel_smallILi128E19rocblas_complex_numIdEiPS3_EEvT1_S5_T2_lS5_lPKT0_lS6_lS5_l.numbered_sgpr, 28
	.set _ZN9rocsolver6v33100L23larf_right_kernel_smallILi128E19rocblas_complex_numIdEiPS3_EEvT1_S5_T2_lS5_lPKT0_lS6_lS5_l.num_named_barrier, 0
	.set _ZN9rocsolver6v33100L23larf_right_kernel_smallILi128E19rocblas_complex_numIdEiPS3_EEvT1_S5_T2_lS5_lPKT0_lS6_lS5_l.private_seg_size, 0
	.set _ZN9rocsolver6v33100L23larf_right_kernel_smallILi128E19rocblas_complex_numIdEiPS3_EEvT1_S5_T2_lS5_lPKT0_lS6_lS5_l.uses_vcc, 1
	.set _ZN9rocsolver6v33100L23larf_right_kernel_smallILi128E19rocblas_complex_numIdEiPS3_EEvT1_S5_T2_lS5_lPKT0_lS6_lS5_l.uses_flat_scratch, 0
	.set _ZN9rocsolver6v33100L23larf_right_kernel_smallILi128E19rocblas_complex_numIdEiPS3_EEvT1_S5_T2_lS5_lPKT0_lS6_lS5_l.has_dyn_sized_stack, 0
	.set _ZN9rocsolver6v33100L23larf_right_kernel_smallILi128E19rocblas_complex_numIdEiPS3_EEvT1_S5_T2_lS5_lPKT0_lS6_lS5_l.has_recursion, 0
	.set _ZN9rocsolver6v33100L23larf_right_kernel_smallILi128E19rocblas_complex_numIdEiPS3_EEvT1_S5_T2_lS5_lPKT0_lS6_lS5_l.has_indirect_call, 0
	.section	.AMDGPU.csdata,"",@progbits
; Kernel info:
; codeLenInByte = 1512
; TotalNumSgprs: 32
; NumVgprs: 30
; ScratchSize: 0
; MemoryBound: 0
; FloatMode: 240
; IeeeMode: 1
; LDSByteSize: 32800 bytes/workgroup (compile time only)
; SGPRBlocks: 12
; VGPRBlocks: 32
; NumSGPRsForWavesPerEU: 102
; NumVGPRsForWavesPerEU: 129
; Occupancy: 1
; WaveLimiterHint : 0
; COMPUTE_PGM_RSRC2:SCRATCH_EN: 0
; COMPUTE_PGM_RSRC2:USER_SGPR: 6
; COMPUTE_PGM_RSRC2:TRAP_HANDLER: 0
; COMPUTE_PGM_RSRC2:TGID_X_EN: 1
; COMPUTE_PGM_RSRC2:TGID_Y_EN: 1
; COMPUTE_PGM_RSRC2:TGID_Z_EN: 0
; COMPUTE_PGM_RSRC2:TIDIG_COMP_CNT: 0
	.section	.text._ZN9rocsolver6v33100L23larf_right_kernel_smallILi256E19rocblas_complex_numIdEiPS3_EEvT1_S5_T2_lS5_lPKT0_lS6_lS5_l,"axG",@progbits,_ZN9rocsolver6v33100L23larf_right_kernel_smallILi256E19rocblas_complex_numIdEiPS3_EEvT1_S5_T2_lS5_lPKT0_lS6_lS5_l,comdat
	.globl	_ZN9rocsolver6v33100L23larf_right_kernel_smallILi256E19rocblas_complex_numIdEiPS3_EEvT1_S5_T2_lS5_lPKT0_lS6_lS5_l ; -- Begin function _ZN9rocsolver6v33100L23larf_right_kernel_smallILi256E19rocblas_complex_numIdEiPS3_EEvT1_S5_T2_lS5_lPKT0_lS6_lS5_l
	.p2align	8
	.type	_ZN9rocsolver6v33100L23larf_right_kernel_smallILi256E19rocblas_complex_numIdEiPS3_EEvT1_S5_T2_lS5_lPKT0_lS6_lS5_l,@function
_ZN9rocsolver6v33100L23larf_right_kernel_smallILi256E19rocblas_complex_numIdEiPS3_EEvT1_S5_T2_lS5_lPKT0_lS6_lS5_l: ; @_ZN9rocsolver6v33100L23larf_right_kernel_smallILi256E19rocblas_complex_numIdEiPS3_EEvT1_S5_T2_lS5_lPKT0_lS6_lS5_l
; %bb.0:
	s_load_dwordx2 s[18:19], s[4:5], 0x0
	s_load_dwordx8 s[8:15], s[4:5], 0x20
	s_load_dwordx2 s[2:3], s[4:5], 0x40
	s_mov_b32 s16, s7
	s_ashr_i32 s7, s6, 31
	s_waitcnt lgkmcnt(0)
	v_cmp_gt_i32_e64 s[0:1], s19, v0
	v_lshlrev_b32_e32 v13, 4, v0
	s_and_saveexec_b64 s[20:21], s[0:1]
	s_cbranch_execz .LBB7_3
; %bb.1:
	s_load_dwordx4 s[24:27], s[4:5], 0x8
	s_load_dword s22, s[4:5], 0x18
	s_mul_i32 s17, s8, s7
	s_mul_hi_u32 s23, s8, s6
	s_add_i32 s17, s23, s17
	s_mul_i32 s9, s9, s6
	s_add_i32 s9, s17, s9
	s_mul_i32 s8, s8, s6
	s_lshl_b64 s[8:9], s[8:9], 4
	s_waitcnt lgkmcnt(0)
	s_add_u32 s17, s24, s8
	s_addc_u32 s23, s25, s9
	s_lshl_b64 s[8:9], s[26:27], 4
	s_add_u32 s17, s17, s8
	v_mul_lo_u32 v1, v0, s22
	s_addc_u32 s23, s23, s9
	s_sub_i32 s8, 1, s19
	s_mul_i32 s8, s22, s8
	s_cmp_lt_i32 s22, 1
	s_cselect_b32 s8, s8, 0
	v_add_u32_e32 v1, s8, v1
	s_lshl_b32 s22, s22, 8
	v_lshlrev_b32_e32 v3, 4, v0
	s_mov_b64 s[8:9], 0
	v_mov_b32_e32 v4, s23
	v_mov_b32_e32 v5, v0
.LBB7_2:                                ; =>This Inner Loop Header: Depth=1
	v_ashrrev_i32_e32 v2, 31, v1
	v_lshlrev_b64 v[6:7], 4, v[1:2]
	v_add_u32_e32 v5, 0x100, v5
	v_add_co_u32_e32 v6, vcc, s17, v6
	v_addc_co_u32_e32 v7, vcc, v4, v7, vcc
	global_load_dwordx4 v[6:9], v[6:7], off
	v_cmp_le_i32_e32 vcc, s19, v5
	v_add_u32_e32 v1, s22, v1
	s_or_b64 s[8:9], vcc, s[8:9]
	s_waitcnt vmcnt(0)
	ds_write2_b64 v3, v[6:7], v[8:9] offset1:1
	v_add_u32_e32 v3, 0x1000, v3
	s_andn2_b64 exec, exec, s[8:9]
	s_cbranch_execnz .LBB7_2
.LBB7_3:
	s_or_b64 exec, exec, s[20:21]
	s_cmp_ge_i32 s16, s18
	s_waitcnt lgkmcnt(0)
	s_barrier
	s_cbranch_scc1 .LBB7_23
; %bb.4:
	s_load_dwordx2 s[8:9], s[4:5], 0x50
	s_load_dword s17, s[4:5], 0x48
	v_and_b32_e32 v1, 63, v0
	v_mov_b32_e32 v16, 0
	s_waitcnt lgkmcnt(0)
	s_mul_i32 s5, s8, s7
	s_mul_hi_u32 s20, s8, s6
	s_mul_i32 s9, s9, s6
	s_add_i32 s5, s20, s5
	s_mul_i32 s4, s8, s6
	s_add_i32 s5, s5, s9
	s_lshl_b64 s[4:5], s[4:5], 4
	s_add_u32 s4, s14, s4
	s_addc_u32 s5, s15, s5
	s_lshl_b64 s[2:3], s[2:3], 4
	s_add_u32 s20, s4, s2
	s_addc_u32 s21, s5, s3
	s_mul_i32 s2, s12, s7
	s_mul_hi_u32 s3, s12, s6
	s_add_i32 s2, s3, s2
	s_mul_i32 s3, s13, s6
	s_add_i32 s3, s2, s3
	s_mul_i32 s2, s12, s6
	s_lshl_b64 s[2:3], s[2:3], 4
	s_add_u32 s6, s10, s2
	s_addc_u32 s7, s11, s3
	v_cmp_eq_u32_e64 s[2:3], 0, v1
	v_lshrrev_b32_e32 v1, 2, v0
	v_mul_lo_u32 v14, v0, s17
	v_or_b32_e32 v15, 0x8000, v1
	v_mbcnt_lo_u32_b32 v1, -1, 0
	s_cmp_gt_i32 s19, 1
	v_mbcnt_hi_u32_b32 v17, -1, v1
	v_mov_b32_e32 v1, 0x80
	s_cselect_b64 s[8:9], -1, 0
	v_cmp_eq_u32_e64 s[4:5], 0, v0
	s_lshl_b32 s22, s17, 8
	v_and_b32_e32 v18, 63, v17
	v_lshl_or_b32 v19, v17, 2, v1
	s_branch .LBB7_6
.LBB7_5:                                ;   in Loop: Header=BB7_6 Depth=1
	s_or_b64 exec, exec, s[10:11]
	s_add_i32 s16, s16, 64
	s_cmp_ge_i32 s16, s18
	s_cbranch_scc1 .LBB7_23
.LBB7_6:                                ; =>This Loop Header: Depth=1
                                        ;     Child Loop BB7_8 Depth 2
                                        ;     Child Loop BB7_22 Depth 2
	s_ashr_i32 s17, s16, 31
	s_lshl_b64 s[10:11], s[16:17], 4
	s_add_u32 s17, s20, s10
	v_mov_b32_e32 v3, 0
	v_mov_b32_e32 v1, 0
	;; [unrolled: 1-line block ×4, first 2 shown]
	s_addc_u32 s23, s21, s11
	s_and_saveexec_b64 s[10:11], s[0:1]
	s_cbranch_execz .LBB7_10
; %bb.7:                                ;   in Loop: Header=BB7_6 Depth=1
	v_mov_b32_e32 v3, 0
	v_mov_b32_e32 v1, 0
	;; [unrolled: 1-line block ×3, first 2 shown]
	s_mov_b64 s[12:13], 0
	v_mov_b32_e32 v7, s23
	v_mov_b32_e32 v5, v14
	;; [unrolled: 1-line block ×5, first 2 shown]
.LBB7_8:                                ;   Parent Loop BB7_6 Depth=1
                                        ; =>  This Inner Loop Header: Depth=2
	v_ashrrev_i32_e32 v6, 31, v5
	v_lshlrev_b64 v[10:11], 4, v[5:6]
	ds_read_b128 v[24:27], v8
	v_add_co_u32_e32 v10, vcc, s17, v10
	v_addc_co_u32_e32 v11, vcc, v7, v11, vcc
	global_load_dwordx4 v[20:23], v[10:11], off
	v_add_u32_e32 v9, 0x100, v9
	v_cmp_le_i32_e32 vcc, s19, v9
	v_add_u32_e32 v8, 0x1000, v8
	s_or_b64 s[12:13], vcc, s[12:13]
	v_add_u32_e32 v5, s22, v5
	s_waitcnt vmcnt(0) lgkmcnt(0)
	v_mul_f64 v[10:11], v[22:23], v[26:27]
	v_mul_f64 v[26:27], v[20:21], v[26:27]
	v_fma_f64 v[10:11], v[20:21], v[24:25], -v[10:11]
	v_fma_f64 v[20:21], v[22:23], v[24:25], v[26:27]
	v_add_f64 v[1:2], v[1:2], v[10:11]
	v_add_f64 v[3:4], v[3:4], v[20:21]
	s_andn2_b64 exec, exec, s[12:13]
	s_cbranch_execnz .LBB7_8
; %bb.9:                                ;   in Loop: Header=BB7_6 Depth=1
	s_or_b64 exec, exec, s[12:13]
.LBB7_10:                               ;   in Loop: Header=BB7_6 Depth=1
	s_or_b64 exec, exec, s[10:11]
	s_and_b64 vcc, exec, s[8:9]
	s_cbranch_vccz .LBB7_17
; %bb.11:                               ;   in Loop: Header=BB7_6 Depth=1
	v_cmp_ne_u32_e32 vcc, 63, v18
	v_addc_co_u32_e32 v5, vcc, 0, v17, vcc
	v_lshlrev_b32_e32 v8, 2, v5
	ds_bpermute_b32 v5, v8, v1
	ds_bpermute_b32 v6, v8, v2
	;; [unrolled: 1-line block ×4, first 2 shown]
	v_cmp_gt_u32_e32 vcc, 62, v18
	v_cndmask_b32_e64 v9, 0, 2, vcc
	s_waitcnt lgkmcnt(2)
	v_add_f64 v[5:6], v[1:2], v[5:6]
	v_add_lshl_u32 v12, v9, v17, 2
	s_waitcnt lgkmcnt(0)
	v_add_f64 v[7:8], v[3:4], v[7:8]
	v_cmp_gt_u32_e32 vcc, 60, v18
	ds_bpermute_b32 v9, v12, v5
	ds_bpermute_b32 v10, v12, v6
	ds_bpermute_b32 v11, v12, v7
	ds_bpermute_b32 v12, v12, v8
	s_waitcnt lgkmcnt(2)
	v_add_f64 v[5:6], v[5:6], v[9:10]
	v_cndmask_b32_e64 v9, 0, 4, vcc
	s_waitcnt lgkmcnt(0)
	v_add_f64 v[7:8], v[7:8], v[11:12]
	v_add_lshl_u32 v12, v9, v17, 2
	v_cmp_gt_u32_e32 vcc, 56, v18
	ds_bpermute_b32 v9, v12, v5
	ds_bpermute_b32 v10, v12, v6
	ds_bpermute_b32 v11, v12, v7
	ds_bpermute_b32 v12, v12, v8
	s_waitcnt lgkmcnt(2)
	v_add_f64 v[5:6], v[5:6], v[9:10]
	v_cndmask_b32_e64 v9, 0, 8, vcc
	s_waitcnt lgkmcnt(0)
	v_add_f64 v[7:8], v[7:8], v[11:12]
	v_add_lshl_u32 v12, v9, v17, 2
	;; [unrolled: 11-line block ×3, first 2 shown]
	ds_bpermute_b32 v9, v12, v5
	ds_bpermute_b32 v10, v12, v6
	;; [unrolled: 1-line block ×4, first 2 shown]
	s_waitcnt lgkmcnt(2)
	v_add_f64 v[5:6], v[5:6], v[9:10]
	s_waitcnt lgkmcnt(0)
	v_add_f64 v[7:8], v[7:8], v[11:12]
	ds_bpermute_b32 v9, v19, v5
	ds_bpermute_b32 v10, v19, v6
	;; [unrolled: 1-line block ×4, first 2 shown]
	s_waitcnt lgkmcnt(2)
	v_add_f64 v[5:6], v[5:6], v[9:10]
	s_waitcnt lgkmcnt(0)
	v_add_f64 v[7:8], v[7:8], v[11:12]
	s_and_saveexec_b64 s[10:11], s[2:3]
; %bb.12:                               ;   in Loop: Header=BB7_6 Depth=1
	ds_write2_b64 v15, v[5:6], v[7:8] offset1:1
; %bb.13:                               ;   in Loop: Header=BB7_6 Depth=1
	s_or_b64 exec, exec, s[10:11]
	s_mov_b64 s[12:13], 0
	s_mov_b64 s[10:11], 0
	s_waitcnt vmcnt(0) lgkmcnt(0)
	s_barrier
                                        ; implicit-def: $vgpr9_vgpr10
                                        ; implicit-def: $vgpr11_vgpr12
	s_and_saveexec_b64 s[14:15], s[4:5]
	s_xor_b64 s[14:15], exec, s[14:15]
	s_cbranch_execz .LBB7_15
; %bb.14:                               ;   in Loop: Header=BB7_6 Depth=1
	ds_read_b128 v[9:12], v16 offset:32784
	ds_read_b128 v[20:23], v16 offset:32800
	s_mov_b64 s[10:11], exec
	s_waitcnt lgkmcnt(1)
	v_add_f64 v[5:6], v[5:6], v[9:10]
	v_add_f64 v[7:8], v[7:8], v[11:12]
	s_waitcnt lgkmcnt(0)
	v_add_f64 v[9:10], v[5:6], v[20:21]
	v_add_f64 v[20:21], v[7:8], v[22:23]
	ds_read_b128 v[5:8], v16 offset:32816
	s_waitcnt lgkmcnt(0)
	v_add_f64 v[11:12], v[9:10], v[5:6]
	v_add_f64 v[9:10], v[20:21], v[7:8]
.LBB7_15:                               ;   in Loop: Header=BB7_6 Depth=1
	s_or_b64 exec, exec, s[14:15]
	s_and_b64 vcc, exec, s[12:13]
	s_cbranch_vccnz .LBB7_18
.LBB7_16:                               ;   in Loop: Header=BB7_6 Depth=1
	v_mov_b32_e32 v3, v9
	v_mov_b32_e32 v1, v11
	;; [unrolled: 1-line block ×4, first 2 shown]
	s_and_saveexec_b64 s[12:13], s[10:11]
	s_cbranch_execnz .LBB7_19
	s_branch .LBB7_20
.LBB7_17:                               ;   in Loop: Header=BB7_6 Depth=1
	s_mov_b64 s[10:11], 0
                                        ; implicit-def: $vgpr9_vgpr10
                                        ; implicit-def: $vgpr11_vgpr12
	s_cbranch_execz .LBB7_16
.LBB7_18:                               ;   in Loop: Header=BB7_6 Depth=1
	s_andn2_b64 s[10:11], s[10:11], exec
	s_and_b64 s[12:13], s[4:5], exec
	s_or_b64 s[10:11], s[10:11], s[12:13]
	s_and_saveexec_b64 s[12:13], s[10:11]
.LBB7_19:                               ;   in Loop: Header=BB7_6 Depth=1
	ds_write_b128 v16, v[1:4] offset:32768
.LBB7_20:                               ;   in Loop: Header=BB7_6 Depth=1
	s_or_b64 exec, exec, s[12:13]
	s_waitcnt vmcnt(0) lgkmcnt(0)
	s_barrier
	s_and_saveexec_b64 s[10:11], s[0:1]
	s_cbranch_execz .LBB7_5
; %bb.21:                               ;   in Loop: Header=BB7_6 Depth=1
	global_load_dwordx4 v[1:4], v16, s[6:7]
	ds_read_b128 v[5:8], v16 offset:32768
	s_mov_b64 s[12:13], 0
	s_waitcnt vmcnt(0) lgkmcnt(0)
	v_mul_f64 v[9:10], v[1:2], v[5:6]
	v_mul_f64 v[11:12], v[1:2], v[7:8]
	v_fma_f64 v[1:2], v[3:4], v[7:8], -v[9:10]
	v_fma_f64 v[3:4], v[5:6], -v[3:4], -v[11:12]
	v_mov_b32_e32 v7, s23
	v_mov_b32_e32 v8, v13
	;; [unrolled: 1-line block ×4, first 2 shown]
.LBB7_22:                               ;   Parent Loop BB7_6 Depth=1
                                        ; =>  This Inner Loop Header: Depth=2
	v_ashrrev_i32_e32 v6, 31, v5
	v_lshlrev_b64 v[10:11], 4, v[5:6]
	ds_read_b128 v[24:27], v8
	v_add_co_u32_e32 v10, vcc, s17, v10
	v_addc_co_u32_e32 v11, vcc, v7, v11, vcc
	global_load_dwordx4 v[20:23], v[10:11], off
	s_waitcnt lgkmcnt(0)
	v_mul_f64 v[28:29], v[3:4], v[26:27]
	v_mul_f64 v[26:27], v[1:2], v[26:27]
	v_add_u32_e32 v9, 0x100, v9
	v_cmp_le_i32_e32 vcc, s19, v9
	v_add_u32_e32 v8, 0x1000, v8
	v_add_u32_e32 v5, s22, v5
	s_or_b64 s[12:13], vcc, s[12:13]
	v_fma_f64 v[28:29], v[1:2], v[24:25], v[28:29]
	v_fma_f64 v[24:25], v[3:4], v[24:25], -v[26:27]
	s_waitcnt vmcnt(0)
	v_add_f64 v[20:21], v[20:21], v[28:29]
	v_add_f64 v[22:23], v[24:25], v[22:23]
	global_store_dwordx4 v[10:11], v[20:23], off
	s_andn2_b64 exec, exec, s[12:13]
	s_cbranch_execnz .LBB7_22
	s_branch .LBB7_5
.LBB7_23:
	s_endpgm
	.section	.rodata,"a",@progbits
	.p2align	6, 0x0
	.amdhsa_kernel _ZN9rocsolver6v33100L23larf_right_kernel_smallILi256E19rocblas_complex_numIdEiPS3_EEvT1_S5_T2_lS5_lPKT0_lS6_lS5_l
		.amdhsa_group_segment_fixed_size 32832
		.amdhsa_private_segment_fixed_size 0
		.amdhsa_kernarg_size 88
		.amdhsa_user_sgpr_count 6
		.amdhsa_user_sgpr_private_segment_buffer 1
		.amdhsa_user_sgpr_dispatch_ptr 0
		.amdhsa_user_sgpr_queue_ptr 0
		.amdhsa_user_sgpr_kernarg_segment_ptr 1
		.amdhsa_user_sgpr_dispatch_id 0
		.amdhsa_user_sgpr_flat_scratch_init 0
		.amdhsa_user_sgpr_private_segment_size 0
		.amdhsa_uses_dynamic_stack 0
		.amdhsa_system_sgpr_private_segment_wavefront_offset 0
		.amdhsa_system_sgpr_workgroup_id_x 1
		.amdhsa_system_sgpr_workgroup_id_y 1
		.amdhsa_system_sgpr_workgroup_id_z 0
		.amdhsa_system_sgpr_workgroup_info 0
		.amdhsa_system_vgpr_workitem_id 0
		.amdhsa_next_free_vgpr 129
		.amdhsa_next_free_sgpr 98
		.amdhsa_reserve_vcc 1
		.amdhsa_reserve_flat_scratch 0
		.amdhsa_float_round_mode_32 0
		.amdhsa_float_round_mode_16_64 0
		.amdhsa_float_denorm_mode_32 3
		.amdhsa_float_denorm_mode_16_64 3
		.amdhsa_dx10_clamp 1
		.amdhsa_ieee_mode 1
		.amdhsa_fp16_overflow 0
		.amdhsa_exception_fp_ieee_invalid_op 0
		.amdhsa_exception_fp_denorm_src 0
		.amdhsa_exception_fp_ieee_div_zero 0
		.amdhsa_exception_fp_ieee_overflow 0
		.amdhsa_exception_fp_ieee_underflow 0
		.amdhsa_exception_fp_ieee_inexact 0
		.amdhsa_exception_int_div_zero 0
	.end_amdhsa_kernel
	.section	.text._ZN9rocsolver6v33100L23larf_right_kernel_smallILi256E19rocblas_complex_numIdEiPS3_EEvT1_S5_T2_lS5_lPKT0_lS6_lS5_l,"axG",@progbits,_ZN9rocsolver6v33100L23larf_right_kernel_smallILi256E19rocblas_complex_numIdEiPS3_EEvT1_S5_T2_lS5_lPKT0_lS6_lS5_l,comdat
.Lfunc_end7:
	.size	_ZN9rocsolver6v33100L23larf_right_kernel_smallILi256E19rocblas_complex_numIdEiPS3_EEvT1_S5_T2_lS5_lPKT0_lS6_lS5_l, .Lfunc_end7-_ZN9rocsolver6v33100L23larf_right_kernel_smallILi256E19rocblas_complex_numIdEiPS3_EEvT1_S5_T2_lS5_lPKT0_lS6_lS5_l
                                        ; -- End function
	.set _ZN9rocsolver6v33100L23larf_right_kernel_smallILi256E19rocblas_complex_numIdEiPS3_EEvT1_S5_T2_lS5_lPKT0_lS6_lS5_l.num_vgpr, 30
	.set _ZN9rocsolver6v33100L23larf_right_kernel_smallILi256E19rocblas_complex_numIdEiPS3_EEvT1_S5_T2_lS5_lPKT0_lS6_lS5_l.num_agpr, 0
	.set _ZN9rocsolver6v33100L23larf_right_kernel_smallILi256E19rocblas_complex_numIdEiPS3_EEvT1_S5_T2_lS5_lPKT0_lS6_lS5_l.numbered_sgpr, 28
	.set _ZN9rocsolver6v33100L23larf_right_kernel_smallILi256E19rocblas_complex_numIdEiPS3_EEvT1_S5_T2_lS5_lPKT0_lS6_lS5_l.num_named_barrier, 0
	.set _ZN9rocsolver6v33100L23larf_right_kernel_smallILi256E19rocblas_complex_numIdEiPS3_EEvT1_S5_T2_lS5_lPKT0_lS6_lS5_l.private_seg_size, 0
	.set _ZN9rocsolver6v33100L23larf_right_kernel_smallILi256E19rocblas_complex_numIdEiPS3_EEvT1_S5_T2_lS5_lPKT0_lS6_lS5_l.uses_vcc, 1
	.set _ZN9rocsolver6v33100L23larf_right_kernel_smallILi256E19rocblas_complex_numIdEiPS3_EEvT1_S5_T2_lS5_lPKT0_lS6_lS5_l.uses_flat_scratch, 0
	.set _ZN9rocsolver6v33100L23larf_right_kernel_smallILi256E19rocblas_complex_numIdEiPS3_EEvT1_S5_T2_lS5_lPKT0_lS6_lS5_l.has_dyn_sized_stack, 0
	.set _ZN9rocsolver6v33100L23larf_right_kernel_smallILi256E19rocblas_complex_numIdEiPS3_EEvT1_S5_T2_lS5_lPKT0_lS6_lS5_l.has_recursion, 0
	.set _ZN9rocsolver6v33100L23larf_right_kernel_smallILi256E19rocblas_complex_numIdEiPS3_EEvT1_S5_T2_lS5_lPKT0_lS6_lS5_l.has_indirect_call, 0
	.section	.AMDGPU.csdata,"",@progbits
; Kernel info:
; codeLenInByte = 1568
; TotalNumSgprs: 32
; NumVgprs: 30
; ScratchSize: 0
; MemoryBound: 0
; FloatMode: 240
; IeeeMode: 1
; LDSByteSize: 32832 bytes/workgroup (compile time only)
; SGPRBlocks: 12
; VGPRBlocks: 32
; NumSGPRsForWavesPerEU: 102
; NumVGPRsForWavesPerEU: 129
; Occupancy: 1
; WaveLimiterHint : 0
; COMPUTE_PGM_RSRC2:SCRATCH_EN: 0
; COMPUTE_PGM_RSRC2:USER_SGPR: 6
; COMPUTE_PGM_RSRC2:TRAP_HANDLER: 0
; COMPUTE_PGM_RSRC2:TGID_X_EN: 1
; COMPUTE_PGM_RSRC2:TGID_Y_EN: 1
; COMPUTE_PGM_RSRC2:TGID_Z_EN: 0
; COMPUTE_PGM_RSRC2:TIDIG_COMP_CNT: 0
	.section	.text._ZN9rocsolver6v33100L23larf_right_kernel_smallILi512E19rocblas_complex_numIdEiPS3_EEvT1_S5_T2_lS5_lPKT0_lS6_lS5_l,"axG",@progbits,_ZN9rocsolver6v33100L23larf_right_kernel_smallILi512E19rocblas_complex_numIdEiPS3_EEvT1_S5_T2_lS5_lPKT0_lS6_lS5_l,comdat
	.globl	_ZN9rocsolver6v33100L23larf_right_kernel_smallILi512E19rocblas_complex_numIdEiPS3_EEvT1_S5_T2_lS5_lPKT0_lS6_lS5_l ; -- Begin function _ZN9rocsolver6v33100L23larf_right_kernel_smallILi512E19rocblas_complex_numIdEiPS3_EEvT1_S5_T2_lS5_lPKT0_lS6_lS5_l
	.p2align	8
	.type	_ZN9rocsolver6v33100L23larf_right_kernel_smallILi512E19rocblas_complex_numIdEiPS3_EEvT1_S5_T2_lS5_lPKT0_lS6_lS5_l,@function
_ZN9rocsolver6v33100L23larf_right_kernel_smallILi512E19rocblas_complex_numIdEiPS3_EEvT1_S5_T2_lS5_lPKT0_lS6_lS5_l: ; @_ZN9rocsolver6v33100L23larf_right_kernel_smallILi512E19rocblas_complex_numIdEiPS3_EEvT1_S5_T2_lS5_lPKT0_lS6_lS5_l
; %bb.0:
	s_load_dwordx2 s[18:19], s[4:5], 0x0
	s_load_dwordx8 s[8:15], s[4:5], 0x20
	s_load_dwordx2 s[2:3], s[4:5], 0x40
	s_mov_b32 s16, s7
	s_ashr_i32 s7, s6, 31
	s_waitcnt lgkmcnt(0)
	v_cmp_gt_i32_e64 s[0:1], s19, v0
	v_lshlrev_b32_e32 v13, 4, v0
	s_and_saveexec_b64 s[20:21], s[0:1]
	s_cbranch_execz .LBB8_3
; %bb.1:
	s_load_dwordx4 s[24:27], s[4:5], 0x8
	s_load_dword s22, s[4:5], 0x18
	s_mul_i32 s17, s8, s7
	s_mul_hi_u32 s23, s8, s6
	s_add_i32 s17, s23, s17
	s_mul_i32 s9, s9, s6
	s_add_i32 s9, s17, s9
	s_mul_i32 s8, s8, s6
	s_lshl_b64 s[8:9], s[8:9], 4
	s_waitcnt lgkmcnt(0)
	s_add_u32 s17, s24, s8
	s_addc_u32 s23, s25, s9
	s_lshl_b64 s[8:9], s[26:27], 4
	s_add_u32 s17, s17, s8
	v_mul_lo_u32 v1, v0, s22
	s_addc_u32 s23, s23, s9
	s_sub_i32 s8, 1, s19
	s_mul_i32 s8, s22, s8
	s_cmp_lt_i32 s22, 1
	s_cselect_b32 s8, s8, 0
	v_add_u32_e32 v1, s8, v1
	s_lshl_b32 s22, s22, 9
	v_lshlrev_b32_e32 v3, 4, v0
	s_mov_b64 s[8:9], 0
	v_mov_b32_e32 v4, s23
	v_mov_b32_e32 v5, v0
.LBB8_2:                                ; =>This Inner Loop Header: Depth=1
	v_ashrrev_i32_e32 v2, 31, v1
	v_lshlrev_b64 v[6:7], 4, v[1:2]
	v_add_u32_e32 v5, 0x200, v5
	v_add_co_u32_e32 v6, vcc, s17, v6
	v_addc_co_u32_e32 v7, vcc, v4, v7, vcc
	global_load_dwordx4 v[6:9], v[6:7], off
	v_cmp_le_i32_e32 vcc, s19, v5
	v_add_u32_e32 v1, s22, v1
	s_or_b64 s[8:9], vcc, s[8:9]
	s_waitcnt vmcnt(0)
	ds_write2_b64 v3, v[6:7], v[8:9] offset1:1
	v_add_u32_e32 v3, 0x2000, v3
	s_andn2_b64 exec, exec, s[8:9]
	s_cbranch_execnz .LBB8_2
.LBB8_3:
	s_or_b64 exec, exec, s[20:21]
	s_cmp_ge_i32 s16, s18
	s_waitcnt lgkmcnt(0)
	s_barrier
	s_cbranch_scc1 .LBB8_23
; %bb.4:
	s_load_dwordx2 s[8:9], s[4:5], 0x50
	s_load_dword s17, s[4:5], 0x48
	v_and_b32_e32 v1, 63, v0
	v_mov_b32_e32 v16, 0
	s_waitcnt lgkmcnt(0)
	s_mul_i32 s5, s8, s7
	s_mul_hi_u32 s20, s8, s6
	s_mul_i32 s9, s9, s6
	s_add_i32 s5, s20, s5
	s_mul_i32 s4, s8, s6
	s_add_i32 s5, s5, s9
	s_lshl_b64 s[4:5], s[4:5], 4
	s_add_u32 s4, s14, s4
	s_addc_u32 s5, s15, s5
	s_lshl_b64 s[2:3], s[2:3], 4
	s_add_u32 s20, s4, s2
	s_addc_u32 s21, s5, s3
	s_mul_i32 s2, s12, s7
	s_mul_hi_u32 s3, s12, s6
	s_add_i32 s2, s3, s2
	s_mul_i32 s3, s13, s6
	s_add_i32 s3, s2, s3
	s_mul_i32 s2, s12, s6
	s_lshl_b64 s[2:3], s[2:3], 4
	s_add_u32 s6, s10, s2
	s_addc_u32 s7, s11, s3
	v_cmp_eq_u32_e64 s[2:3], 0, v1
	v_lshrrev_b32_e32 v1, 2, v0
	v_mul_lo_u32 v14, v0, s17
	v_or_b32_e32 v15, 0x8000, v1
	v_mbcnt_lo_u32_b32 v1, -1, 0
	s_cmp_gt_i32 s19, 1
	v_mbcnt_hi_u32_b32 v17, -1, v1
	v_mov_b32_e32 v1, 0x80
	s_cselect_b64 s[8:9], -1, 0
	v_cmp_eq_u32_e64 s[4:5], 0, v0
	s_lshl_b32 s22, s17, 9
	v_and_b32_e32 v18, 63, v17
	v_lshl_or_b32 v19, v17, 2, v1
	s_branch .LBB8_6
.LBB8_5:                                ;   in Loop: Header=BB8_6 Depth=1
	s_or_b64 exec, exec, s[10:11]
	s_add_i32 s16, s16, 64
	s_cmp_ge_i32 s16, s18
	s_cbranch_scc1 .LBB8_23
.LBB8_6:                                ; =>This Loop Header: Depth=1
                                        ;     Child Loop BB8_8 Depth 2
                                        ;     Child Loop BB8_22 Depth 2
	s_ashr_i32 s17, s16, 31
	s_lshl_b64 s[10:11], s[16:17], 4
	s_add_u32 s17, s20, s10
	v_mov_b32_e32 v3, 0
	v_mov_b32_e32 v1, 0
	;; [unrolled: 1-line block ×4, first 2 shown]
	s_addc_u32 s23, s21, s11
	s_and_saveexec_b64 s[10:11], s[0:1]
	s_cbranch_execz .LBB8_10
; %bb.7:                                ;   in Loop: Header=BB8_6 Depth=1
	v_mov_b32_e32 v3, 0
	v_mov_b32_e32 v1, 0
	;; [unrolled: 1-line block ×3, first 2 shown]
	s_mov_b64 s[12:13], 0
	v_mov_b32_e32 v7, s23
	v_mov_b32_e32 v5, v14
	v_mov_b32_e32 v8, v13
	v_mov_b32_e32 v2, 0
	v_mov_b32_e32 v9, v0
.LBB8_8:                                ;   Parent Loop BB8_6 Depth=1
                                        ; =>  This Inner Loop Header: Depth=2
	v_ashrrev_i32_e32 v6, 31, v5
	v_lshlrev_b64 v[10:11], 4, v[5:6]
	ds_read_b128 v[24:27], v8
	v_add_co_u32_e32 v10, vcc, s17, v10
	v_addc_co_u32_e32 v11, vcc, v7, v11, vcc
	global_load_dwordx4 v[20:23], v[10:11], off
	v_add_u32_e32 v9, 0x200, v9
	v_cmp_le_i32_e32 vcc, s19, v9
	v_add_u32_e32 v8, 0x2000, v8
	s_or_b64 s[12:13], vcc, s[12:13]
	v_add_u32_e32 v5, s22, v5
	s_waitcnt vmcnt(0) lgkmcnt(0)
	v_mul_f64 v[10:11], v[22:23], v[26:27]
	v_mul_f64 v[26:27], v[20:21], v[26:27]
	v_fma_f64 v[10:11], v[20:21], v[24:25], -v[10:11]
	v_fma_f64 v[20:21], v[22:23], v[24:25], v[26:27]
	v_add_f64 v[1:2], v[1:2], v[10:11]
	v_add_f64 v[3:4], v[3:4], v[20:21]
	s_andn2_b64 exec, exec, s[12:13]
	s_cbranch_execnz .LBB8_8
; %bb.9:                                ;   in Loop: Header=BB8_6 Depth=1
	s_or_b64 exec, exec, s[12:13]
.LBB8_10:                               ;   in Loop: Header=BB8_6 Depth=1
	s_or_b64 exec, exec, s[10:11]
	s_and_b64 vcc, exec, s[8:9]
	s_cbranch_vccz .LBB8_17
; %bb.11:                               ;   in Loop: Header=BB8_6 Depth=1
	v_cmp_ne_u32_e32 vcc, 63, v18
	v_addc_co_u32_e32 v5, vcc, 0, v17, vcc
	v_lshlrev_b32_e32 v8, 2, v5
	ds_bpermute_b32 v5, v8, v1
	ds_bpermute_b32 v6, v8, v2
	ds_bpermute_b32 v7, v8, v3
	ds_bpermute_b32 v8, v8, v4
	v_cmp_gt_u32_e32 vcc, 62, v18
	v_cndmask_b32_e64 v9, 0, 2, vcc
	s_waitcnt lgkmcnt(2)
	v_add_f64 v[5:6], v[1:2], v[5:6]
	v_add_lshl_u32 v12, v9, v17, 2
	s_waitcnt lgkmcnt(0)
	v_add_f64 v[7:8], v[3:4], v[7:8]
	v_cmp_gt_u32_e32 vcc, 60, v18
	ds_bpermute_b32 v9, v12, v5
	ds_bpermute_b32 v10, v12, v6
	ds_bpermute_b32 v11, v12, v7
	ds_bpermute_b32 v12, v12, v8
	s_waitcnt lgkmcnt(2)
	v_add_f64 v[5:6], v[5:6], v[9:10]
	v_cndmask_b32_e64 v9, 0, 4, vcc
	s_waitcnt lgkmcnt(0)
	v_add_f64 v[7:8], v[7:8], v[11:12]
	v_add_lshl_u32 v12, v9, v17, 2
	v_cmp_gt_u32_e32 vcc, 56, v18
	ds_bpermute_b32 v9, v12, v5
	ds_bpermute_b32 v10, v12, v6
	ds_bpermute_b32 v11, v12, v7
	ds_bpermute_b32 v12, v12, v8
	s_waitcnt lgkmcnt(2)
	v_add_f64 v[5:6], v[5:6], v[9:10]
	v_cndmask_b32_e64 v9, 0, 8, vcc
	s_waitcnt lgkmcnt(0)
	v_add_f64 v[7:8], v[7:8], v[11:12]
	v_add_lshl_u32 v12, v9, v17, 2
	;; [unrolled: 11-line block ×3, first 2 shown]
	ds_bpermute_b32 v9, v12, v5
	ds_bpermute_b32 v10, v12, v6
	;; [unrolled: 1-line block ×4, first 2 shown]
	s_waitcnt lgkmcnt(2)
	v_add_f64 v[5:6], v[5:6], v[9:10]
	s_waitcnt lgkmcnt(0)
	v_add_f64 v[7:8], v[7:8], v[11:12]
	ds_bpermute_b32 v9, v19, v5
	ds_bpermute_b32 v10, v19, v6
	;; [unrolled: 1-line block ×4, first 2 shown]
	s_waitcnt lgkmcnt(2)
	v_add_f64 v[5:6], v[5:6], v[9:10]
	s_waitcnt lgkmcnt(0)
	v_add_f64 v[7:8], v[7:8], v[11:12]
	s_and_saveexec_b64 s[10:11], s[2:3]
; %bb.12:                               ;   in Loop: Header=BB8_6 Depth=1
	ds_write2_b64 v15, v[5:6], v[7:8] offset1:1
; %bb.13:                               ;   in Loop: Header=BB8_6 Depth=1
	s_or_b64 exec, exec, s[10:11]
	s_mov_b64 s[12:13], 0
	s_mov_b64 s[10:11], 0
	s_waitcnt vmcnt(0) lgkmcnt(0)
	s_barrier
                                        ; implicit-def: $vgpr9_vgpr10
                                        ; implicit-def: $vgpr11_vgpr12
	s_and_saveexec_b64 s[14:15], s[4:5]
	s_xor_b64 s[14:15], exec, s[14:15]
	s_cbranch_execz .LBB8_15
; %bb.14:                               ;   in Loop: Header=BB8_6 Depth=1
	ds_read_b128 v[9:12], v16 offset:32784
	ds_read_b128 v[20:23], v16 offset:32800
	s_mov_b64 s[10:11], exec
	s_waitcnt lgkmcnt(1)
	v_add_f64 v[5:6], v[5:6], v[9:10]
	v_add_f64 v[7:8], v[7:8], v[11:12]
	s_waitcnt lgkmcnt(0)
	v_add_f64 v[20:21], v[5:6], v[20:21]
	v_add_f64 v[22:23], v[7:8], v[22:23]
	ds_read_b128 v[5:8], v16 offset:32816
	ds_read_b128 v[9:12], v16 offset:32832
	s_waitcnt lgkmcnt(1)
	v_add_f64 v[5:6], v[20:21], v[5:6]
	v_add_f64 v[7:8], v[22:23], v[7:8]
	s_waitcnt lgkmcnt(0)
	v_add_f64 v[20:21], v[5:6], v[9:10]
	v_add_f64 v[22:23], v[7:8], v[11:12]
	ds_read_b128 v[5:8], v16 offset:32848
	ds_read_b128 v[9:12], v16 offset:32864
	s_waitcnt lgkmcnt(1)
	v_add_f64 v[5:6], v[20:21], v[5:6]
	v_add_f64 v[7:8], v[22:23], v[7:8]
	s_waitcnt lgkmcnt(0)
	v_add_f64 v[9:10], v[5:6], v[9:10]
	v_add_f64 v[20:21], v[7:8], v[11:12]
	ds_read_b128 v[5:8], v16 offset:32880
	s_waitcnt lgkmcnt(0)
	v_add_f64 v[11:12], v[9:10], v[5:6]
	v_add_f64 v[9:10], v[20:21], v[7:8]
.LBB8_15:                               ;   in Loop: Header=BB8_6 Depth=1
	s_or_b64 exec, exec, s[14:15]
	s_and_b64 vcc, exec, s[12:13]
	s_cbranch_vccnz .LBB8_18
.LBB8_16:                               ;   in Loop: Header=BB8_6 Depth=1
	v_mov_b32_e32 v3, v9
	v_mov_b32_e32 v1, v11
	;; [unrolled: 1-line block ×4, first 2 shown]
	s_and_saveexec_b64 s[12:13], s[10:11]
	s_cbranch_execnz .LBB8_19
	s_branch .LBB8_20
.LBB8_17:                               ;   in Loop: Header=BB8_6 Depth=1
	s_mov_b64 s[10:11], 0
                                        ; implicit-def: $vgpr9_vgpr10
                                        ; implicit-def: $vgpr11_vgpr12
	s_cbranch_execz .LBB8_16
.LBB8_18:                               ;   in Loop: Header=BB8_6 Depth=1
	s_andn2_b64 s[10:11], s[10:11], exec
	s_and_b64 s[12:13], s[4:5], exec
	s_or_b64 s[10:11], s[10:11], s[12:13]
	s_and_saveexec_b64 s[12:13], s[10:11]
.LBB8_19:                               ;   in Loop: Header=BB8_6 Depth=1
	ds_write_b128 v16, v[1:4] offset:32768
.LBB8_20:                               ;   in Loop: Header=BB8_6 Depth=1
	s_or_b64 exec, exec, s[12:13]
	s_waitcnt vmcnt(0) lgkmcnt(0)
	s_barrier
	s_and_saveexec_b64 s[10:11], s[0:1]
	s_cbranch_execz .LBB8_5
; %bb.21:                               ;   in Loop: Header=BB8_6 Depth=1
	global_load_dwordx4 v[1:4], v16, s[6:7]
	ds_read_b128 v[5:8], v16 offset:32768
	s_mov_b64 s[12:13], 0
	s_waitcnt vmcnt(0) lgkmcnt(0)
	v_mul_f64 v[9:10], v[1:2], v[5:6]
	v_mul_f64 v[11:12], v[1:2], v[7:8]
	v_fma_f64 v[1:2], v[3:4], v[7:8], -v[9:10]
	v_fma_f64 v[3:4], v[5:6], -v[3:4], -v[11:12]
	v_mov_b32_e32 v7, v13
	v_mov_b32_e32 v5, v14
	;; [unrolled: 1-line block ×3, first 2 shown]
.LBB8_22:                               ;   Parent Loop BB8_6 Depth=1
                                        ; =>  This Inner Loop Header: Depth=2
	v_ashrrev_i32_e32 v6, 31, v5
	v_lshlrev_b64 v[9:10], 4, v[5:6]
	v_mov_b32_e32 v11, s23
	v_add_co_u32_e32 v24, vcc, s17, v9
	v_addc_co_u32_e32 v25, vcc, v11, v10, vcc
	global_load_dwordx4 v[9:12], v[24:25], off
	ds_read_b128 v[20:23], v7
	v_add_u32_e32 v8, 0x200, v8
	v_cmp_le_i32_e32 vcc, s19, v8
	v_add_u32_e32 v7, 0x2000, v7
	v_add_u32_e32 v5, s22, v5
	s_waitcnt lgkmcnt(0)
	v_mul_f64 v[26:27], v[3:4], v[22:23]
	v_mul_f64 v[22:23], v[1:2], v[22:23]
	s_or_b64 s[12:13], vcc, s[12:13]
	v_fma_f64 v[26:27], v[1:2], v[20:21], v[26:27]
	v_fma_f64 v[20:21], v[3:4], v[20:21], -v[22:23]
	s_waitcnt vmcnt(0)
	v_add_f64 v[9:10], v[9:10], v[26:27]
	v_add_f64 v[11:12], v[20:21], v[11:12]
	global_store_dwordx4 v[24:25], v[9:12], off
	s_andn2_b64 exec, exec, s[12:13]
	s_cbranch_execnz .LBB8_22
	s_branch .LBB8_5
.LBB8_23:
	s_endpgm
	.section	.rodata,"a",@progbits
	.p2align	6, 0x0
	.amdhsa_kernel _ZN9rocsolver6v33100L23larf_right_kernel_smallILi512E19rocblas_complex_numIdEiPS3_EEvT1_S5_T2_lS5_lPKT0_lS6_lS5_l
		.amdhsa_group_segment_fixed_size 32896
		.amdhsa_private_segment_fixed_size 0
		.amdhsa_kernarg_size 88
		.amdhsa_user_sgpr_count 6
		.amdhsa_user_sgpr_private_segment_buffer 1
		.amdhsa_user_sgpr_dispatch_ptr 0
		.amdhsa_user_sgpr_queue_ptr 0
		.amdhsa_user_sgpr_kernarg_segment_ptr 1
		.amdhsa_user_sgpr_dispatch_id 0
		.amdhsa_user_sgpr_flat_scratch_init 0
		.amdhsa_user_sgpr_private_segment_size 0
		.amdhsa_uses_dynamic_stack 0
		.amdhsa_system_sgpr_private_segment_wavefront_offset 0
		.amdhsa_system_sgpr_workgroup_id_x 1
		.amdhsa_system_sgpr_workgroup_id_y 1
		.amdhsa_system_sgpr_workgroup_id_z 0
		.amdhsa_system_sgpr_workgroup_info 0
		.amdhsa_system_vgpr_workitem_id 0
		.amdhsa_next_free_vgpr 85
		.amdhsa_next_free_sgpr 98
		.amdhsa_reserve_vcc 1
		.amdhsa_reserve_flat_scratch 0
		.amdhsa_float_round_mode_32 0
		.amdhsa_float_round_mode_16_64 0
		.amdhsa_float_denorm_mode_32 3
		.amdhsa_float_denorm_mode_16_64 3
		.amdhsa_dx10_clamp 1
		.amdhsa_ieee_mode 1
		.amdhsa_fp16_overflow 0
		.amdhsa_exception_fp_ieee_invalid_op 0
		.amdhsa_exception_fp_denorm_src 0
		.amdhsa_exception_fp_ieee_div_zero 0
		.amdhsa_exception_fp_ieee_overflow 0
		.amdhsa_exception_fp_ieee_underflow 0
		.amdhsa_exception_fp_ieee_inexact 0
		.amdhsa_exception_int_div_zero 0
	.end_amdhsa_kernel
	.section	.text._ZN9rocsolver6v33100L23larf_right_kernel_smallILi512E19rocblas_complex_numIdEiPS3_EEvT1_S5_T2_lS5_lPKT0_lS6_lS5_l,"axG",@progbits,_ZN9rocsolver6v33100L23larf_right_kernel_smallILi512E19rocblas_complex_numIdEiPS3_EEvT1_S5_T2_lS5_lPKT0_lS6_lS5_l,comdat
.Lfunc_end8:
	.size	_ZN9rocsolver6v33100L23larf_right_kernel_smallILi512E19rocblas_complex_numIdEiPS3_EEvT1_S5_T2_lS5_lPKT0_lS6_lS5_l, .Lfunc_end8-_ZN9rocsolver6v33100L23larf_right_kernel_smallILi512E19rocblas_complex_numIdEiPS3_EEvT1_S5_T2_lS5_lPKT0_lS6_lS5_l
                                        ; -- End function
	.set _ZN9rocsolver6v33100L23larf_right_kernel_smallILi512E19rocblas_complex_numIdEiPS3_EEvT1_S5_T2_lS5_lPKT0_lS6_lS5_l.num_vgpr, 28
	.set _ZN9rocsolver6v33100L23larf_right_kernel_smallILi512E19rocblas_complex_numIdEiPS3_EEvT1_S5_T2_lS5_lPKT0_lS6_lS5_l.num_agpr, 0
	.set _ZN9rocsolver6v33100L23larf_right_kernel_smallILi512E19rocblas_complex_numIdEiPS3_EEvT1_S5_T2_lS5_lPKT0_lS6_lS5_l.numbered_sgpr, 28
	.set _ZN9rocsolver6v33100L23larf_right_kernel_smallILi512E19rocblas_complex_numIdEiPS3_EEvT1_S5_T2_lS5_lPKT0_lS6_lS5_l.num_named_barrier, 0
	.set _ZN9rocsolver6v33100L23larf_right_kernel_smallILi512E19rocblas_complex_numIdEiPS3_EEvT1_S5_T2_lS5_lPKT0_lS6_lS5_l.private_seg_size, 0
	.set _ZN9rocsolver6v33100L23larf_right_kernel_smallILi512E19rocblas_complex_numIdEiPS3_EEvT1_S5_T2_lS5_lPKT0_lS6_lS5_l.uses_vcc, 1
	.set _ZN9rocsolver6v33100L23larf_right_kernel_smallILi512E19rocblas_complex_numIdEiPS3_EEvT1_S5_T2_lS5_lPKT0_lS6_lS5_l.uses_flat_scratch, 0
	.set _ZN9rocsolver6v33100L23larf_right_kernel_smallILi512E19rocblas_complex_numIdEiPS3_EEvT1_S5_T2_lS5_lPKT0_lS6_lS5_l.has_dyn_sized_stack, 0
	.set _ZN9rocsolver6v33100L23larf_right_kernel_smallILi512E19rocblas_complex_numIdEiPS3_EEvT1_S5_T2_lS5_lPKT0_lS6_lS5_l.has_recursion, 0
	.set _ZN9rocsolver6v33100L23larf_right_kernel_smallILi512E19rocblas_complex_numIdEiPS3_EEvT1_S5_T2_lS5_lPKT0_lS6_lS5_l.has_indirect_call, 0
	.section	.AMDGPU.csdata,"",@progbits
; Kernel info:
; codeLenInByte = 1680
; TotalNumSgprs: 32
; NumVgprs: 28
; ScratchSize: 0
; MemoryBound: 0
; FloatMode: 240
; IeeeMode: 1
; LDSByteSize: 32896 bytes/workgroup (compile time only)
; SGPRBlocks: 12
; VGPRBlocks: 21
; NumSGPRsForWavesPerEU: 102
; NumVGPRsForWavesPerEU: 85
; Occupancy: 2
; WaveLimiterHint : 0
; COMPUTE_PGM_RSRC2:SCRATCH_EN: 0
; COMPUTE_PGM_RSRC2:USER_SGPR: 6
; COMPUTE_PGM_RSRC2:TRAP_HANDLER: 0
; COMPUTE_PGM_RSRC2:TGID_X_EN: 1
; COMPUTE_PGM_RSRC2:TGID_Y_EN: 1
; COMPUTE_PGM_RSRC2:TGID_Z_EN: 0
; COMPUTE_PGM_RSRC2:TIDIG_COMP_CNT: 0
	.section	.text._ZN9rocsolver6v33100L23larf_right_kernel_smallILi1024E19rocblas_complex_numIdEiPS3_EEvT1_S5_T2_lS5_lPKT0_lS6_lS5_l,"axG",@progbits,_ZN9rocsolver6v33100L23larf_right_kernel_smallILi1024E19rocblas_complex_numIdEiPS3_EEvT1_S5_T2_lS5_lPKT0_lS6_lS5_l,comdat
	.globl	_ZN9rocsolver6v33100L23larf_right_kernel_smallILi1024E19rocblas_complex_numIdEiPS3_EEvT1_S5_T2_lS5_lPKT0_lS6_lS5_l ; -- Begin function _ZN9rocsolver6v33100L23larf_right_kernel_smallILi1024E19rocblas_complex_numIdEiPS3_EEvT1_S5_T2_lS5_lPKT0_lS6_lS5_l
	.p2align	8
	.type	_ZN9rocsolver6v33100L23larf_right_kernel_smallILi1024E19rocblas_complex_numIdEiPS3_EEvT1_S5_T2_lS5_lPKT0_lS6_lS5_l,@function
_ZN9rocsolver6v33100L23larf_right_kernel_smallILi1024E19rocblas_complex_numIdEiPS3_EEvT1_S5_T2_lS5_lPKT0_lS6_lS5_l: ; @_ZN9rocsolver6v33100L23larf_right_kernel_smallILi1024E19rocblas_complex_numIdEiPS3_EEvT1_S5_T2_lS5_lPKT0_lS6_lS5_l
; %bb.0:
	s_load_dwordx2 s[18:19], s[4:5], 0x0
	s_load_dwordx8 s[8:15], s[4:5], 0x20
	s_load_dwordx2 s[2:3], s[4:5], 0x40
	s_mov_b32 s16, s7
	s_ashr_i32 s7, s6, 31
	s_waitcnt lgkmcnt(0)
	v_cmp_gt_i32_e64 s[0:1], s19, v0
	v_lshlrev_b32_e32 v13, 4, v0
	s_and_saveexec_b64 s[20:21], s[0:1]
	s_cbranch_execz .LBB9_3
; %bb.1:
	s_load_dwordx4 s[24:27], s[4:5], 0x8
	s_load_dword s22, s[4:5], 0x18
	s_mul_i32 s17, s8, s7
	s_mul_hi_u32 s23, s8, s6
	s_add_i32 s17, s23, s17
	s_mul_i32 s9, s9, s6
	s_add_i32 s9, s17, s9
	s_mul_i32 s8, s8, s6
	s_lshl_b64 s[8:9], s[8:9], 4
	s_waitcnt lgkmcnt(0)
	s_add_u32 s17, s24, s8
	s_addc_u32 s23, s25, s9
	s_lshl_b64 s[8:9], s[26:27], 4
	s_add_u32 s17, s17, s8
	v_mul_lo_u32 v1, v0, s22
	s_addc_u32 s23, s23, s9
	s_sub_i32 s8, 1, s19
	s_mul_i32 s8, s22, s8
	s_cmp_lt_i32 s22, 1
	s_cselect_b32 s8, s8, 0
	v_add_u32_e32 v1, s8, v1
	s_lshl_b32 s22, s22, 10
	v_lshlrev_b32_e32 v3, 4, v0
	s_mov_b64 s[8:9], 0
	v_mov_b32_e32 v4, s23
	v_mov_b32_e32 v5, v0
.LBB9_2:                                ; =>This Inner Loop Header: Depth=1
	v_ashrrev_i32_e32 v2, 31, v1
	v_lshlrev_b64 v[6:7], 4, v[1:2]
	v_add_u32_e32 v5, 0x400, v5
	v_add_co_u32_e32 v6, vcc, s17, v6
	v_addc_co_u32_e32 v7, vcc, v4, v7, vcc
	global_load_dwordx4 v[6:9], v[6:7], off
	v_cmp_le_i32_e32 vcc, s19, v5
	v_add_u32_e32 v1, s22, v1
	s_or_b64 s[8:9], vcc, s[8:9]
	s_waitcnt vmcnt(0)
	ds_write2_b64 v3, v[6:7], v[8:9] offset1:1
	v_add_u32_e32 v3, 0x4000, v3
	s_andn2_b64 exec, exec, s[8:9]
	s_cbranch_execnz .LBB9_2
.LBB9_3:
	s_or_b64 exec, exec, s[20:21]
	s_cmp_ge_i32 s16, s18
	s_waitcnt lgkmcnt(0)
	s_barrier
	s_cbranch_scc1 .LBB9_23
; %bb.4:
	s_load_dwordx2 s[8:9], s[4:5], 0x50
	s_load_dword s17, s[4:5], 0x48
	v_and_b32_e32 v1, 63, v0
	v_mov_b32_e32 v16, 0
	s_waitcnt lgkmcnt(0)
	s_mul_i32 s5, s8, s7
	s_mul_hi_u32 s20, s8, s6
	s_mul_i32 s9, s9, s6
	s_add_i32 s5, s20, s5
	s_mul_i32 s4, s8, s6
	s_add_i32 s5, s5, s9
	s_lshl_b64 s[4:5], s[4:5], 4
	s_add_u32 s4, s14, s4
	s_addc_u32 s5, s15, s5
	s_lshl_b64 s[2:3], s[2:3], 4
	s_add_u32 s20, s4, s2
	s_addc_u32 s21, s5, s3
	s_mul_i32 s2, s12, s7
	s_mul_hi_u32 s3, s12, s6
	s_add_i32 s2, s3, s2
	s_mul_i32 s3, s13, s6
	s_add_i32 s3, s2, s3
	s_mul_i32 s2, s12, s6
	s_lshl_b64 s[2:3], s[2:3], 4
	s_add_u32 s6, s10, s2
	s_addc_u32 s7, s11, s3
	v_cmp_eq_u32_e64 s[2:3], 0, v1
	v_lshrrev_b32_e32 v1, 2, v0
	v_mul_lo_u32 v14, v0, s17
	v_or_b32_e32 v15, 0x8000, v1
	v_mbcnt_lo_u32_b32 v1, -1, 0
	s_cmp_gt_i32 s19, 1
	v_mbcnt_hi_u32_b32 v17, -1, v1
	v_mov_b32_e32 v1, 0x80
	s_cselect_b64 s[8:9], -1, 0
	v_cmp_eq_u32_e64 s[4:5], 0, v0
	s_lshl_b32 s22, s17, 10
	v_and_b32_e32 v18, 63, v17
	v_lshl_or_b32 v19, v17, 2, v1
	s_branch .LBB9_6
.LBB9_5:                                ;   in Loop: Header=BB9_6 Depth=1
	s_or_b64 exec, exec, s[10:11]
	s_add_i32 s16, s16, 64
	s_cmp_ge_i32 s16, s18
	s_cbranch_scc1 .LBB9_23
.LBB9_6:                                ; =>This Loop Header: Depth=1
                                        ;     Child Loop BB9_8 Depth 2
                                        ;     Child Loop BB9_22 Depth 2
	s_ashr_i32 s17, s16, 31
	s_lshl_b64 s[10:11], s[16:17], 4
	s_add_u32 s17, s20, s10
	v_mov_b32_e32 v3, 0
	v_mov_b32_e32 v1, 0
	;; [unrolled: 1-line block ×4, first 2 shown]
	s_addc_u32 s23, s21, s11
	s_and_saveexec_b64 s[10:11], s[0:1]
	s_cbranch_execz .LBB9_10
; %bb.7:                                ;   in Loop: Header=BB9_6 Depth=1
	v_mov_b32_e32 v3, 0
	v_mov_b32_e32 v1, 0
	;; [unrolled: 1-line block ×3, first 2 shown]
	s_mov_b64 s[12:13], 0
	v_mov_b32_e32 v7, s23
	v_mov_b32_e32 v5, v14
	;; [unrolled: 1-line block ×5, first 2 shown]
.LBB9_8:                                ;   Parent Loop BB9_6 Depth=1
                                        ; =>  This Inner Loop Header: Depth=2
	v_ashrrev_i32_e32 v6, 31, v5
	v_lshlrev_b64 v[10:11], 4, v[5:6]
	ds_read_b128 v[24:27], v8
	v_add_co_u32_e32 v10, vcc, s17, v10
	v_addc_co_u32_e32 v11, vcc, v7, v11, vcc
	global_load_dwordx4 v[20:23], v[10:11], off
	v_add_u32_e32 v9, 0x400, v9
	v_cmp_le_i32_e32 vcc, s19, v9
	v_add_u32_e32 v8, 0x4000, v8
	s_or_b64 s[12:13], vcc, s[12:13]
	v_add_u32_e32 v5, s22, v5
	s_waitcnt vmcnt(0) lgkmcnt(0)
	v_mul_f64 v[10:11], v[22:23], v[26:27]
	v_mul_f64 v[26:27], v[20:21], v[26:27]
	v_fma_f64 v[10:11], v[20:21], v[24:25], -v[10:11]
	v_fma_f64 v[20:21], v[22:23], v[24:25], v[26:27]
	v_add_f64 v[1:2], v[1:2], v[10:11]
	v_add_f64 v[3:4], v[3:4], v[20:21]
	s_andn2_b64 exec, exec, s[12:13]
	s_cbranch_execnz .LBB9_8
; %bb.9:                                ;   in Loop: Header=BB9_6 Depth=1
	s_or_b64 exec, exec, s[12:13]
.LBB9_10:                               ;   in Loop: Header=BB9_6 Depth=1
	s_or_b64 exec, exec, s[10:11]
	s_and_b64 vcc, exec, s[8:9]
	s_cbranch_vccz .LBB9_17
; %bb.11:                               ;   in Loop: Header=BB9_6 Depth=1
	v_cmp_ne_u32_e32 vcc, 63, v18
	v_addc_co_u32_e32 v5, vcc, 0, v17, vcc
	v_lshlrev_b32_e32 v8, 2, v5
	ds_bpermute_b32 v5, v8, v1
	ds_bpermute_b32 v6, v8, v2
	;; [unrolled: 1-line block ×4, first 2 shown]
	v_cmp_gt_u32_e32 vcc, 62, v18
	v_cndmask_b32_e64 v9, 0, 2, vcc
	s_waitcnt lgkmcnt(2)
	v_add_f64 v[5:6], v[1:2], v[5:6]
	v_add_lshl_u32 v12, v9, v17, 2
	s_waitcnt lgkmcnt(0)
	v_add_f64 v[7:8], v[3:4], v[7:8]
	v_cmp_gt_u32_e32 vcc, 60, v18
	ds_bpermute_b32 v9, v12, v5
	ds_bpermute_b32 v10, v12, v6
	ds_bpermute_b32 v11, v12, v7
	ds_bpermute_b32 v12, v12, v8
	s_waitcnt lgkmcnt(2)
	v_add_f64 v[5:6], v[5:6], v[9:10]
	v_cndmask_b32_e64 v9, 0, 4, vcc
	s_waitcnt lgkmcnt(0)
	v_add_f64 v[7:8], v[7:8], v[11:12]
	v_add_lshl_u32 v12, v9, v17, 2
	v_cmp_gt_u32_e32 vcc, 56, v18
	ds_bpermute_b32 v9, v12, v5
	ds_bpermute_b32 v10, v12, v6
	ds_bpermute_b32 v11, v12, v7
	ds_bpermute_b32 v12, v12, v8
	s_waitcnt lgkmcnt(2)
	v_add_f64 v[5:6], v[5:6], v[9:10]
	v_cndmask_b32_e64 v9, 0, 8, vcc
	s_waitcnt lgkmcnt(0)
	v_add_f64 v[7:8], v[7:8], v[11:12]
	v_add_lshl_u32 v12, v9, v17, 2
	;; [unrolled: 11-line block ×3, first 2 shown]
	ds_bpermute_b32 v9, v12, v5
	ds_bpermute_b32 v10, v12, v6
	ds_bpermute_b32 v11, v12, v7
	ds_bpermute_b32 v12, v12, v8
	s_waitcnt lgkmcnt(2)
	v_add_f64 v[5:6], v[5:6], v[9:10]
	s_waitcnt lgkmcnt(0)
	v_add_f64 v[7:8], v[7:8], v[11:12]
	ds_bpermute_b32 v9, v19, v5
	ds_bpermute_b32 v10, v19, v6
	;; [unrolled: 1-line block ×4, first 2 shown]
	s_waitcnt lgkmcnt(2)
	v_add_f64 v[5:6], v[5:6], v[9:10]
	s_waitcnt lgkmcnt(0)
	v_add_f64 v[7:8], v[7:8], v[11:12]
	s_and_saveexec_b64 s[10:11], s[2:3]
; %bb.12:                               ;   in Loop: Header=BB9_6 Depth=1
	ds_write2_b64 v15, v[5:6], v[7:8] offset1:1
; %bb.13:                               ;   in Loop: Header=BB9_6 Depth=1
	s_or_b64 exec, exec, s[10:11]
	s_mov_b64 s[12:13], 0
	s_mov_b64 s[10:11], 0
	s_waitcnt vmcnt(0) lgkmcnt(0)
	s_barrier
                                        ; implicit-def: $vgpr9_vgpr10
                                        ; implicit-def: $vgpr11_vgpr12
	s_and_saveexec_b64 s[14:15], s[4:5]
	s_xor_b64 s[14:15], exec, s[14:15]
	s_cbranch_execz .LBB9_15
; %bb.14:                               ;   in Loop: Header=BB9_6 Depth=1
	ds_read_b128 v[9:12], v16 offset:32784
	ds_read_b128 v[20:23], v16 offset:32800
	s_mov_b64 s[10:11], exec
	s_waitcnt lgkmcnt(1)
	v_add_f64 v[5:6], v[5:6], v[9:10]
	v_add_f64 v[7:8], v[7:8], v[11:12]
	s_waitcnt lgkmcnt(0)
	v_add_f64 v[20:21], v[5:6], v[20:21]
	v_add_f64 v[22:23], v[7:8], v[22:23]
	ds_read_b128 v[5:8], v16 offset:32816
	ds_read_b128 v[9:12], v16 offset:32832
	s_waitcnt lgkmcnt(1)
	v_add_f64 v[5:6], v[20:21], v[5:6]
	v_add_f64 v[7:8], v[22:23], v[7:8]
	s_waitcnt lgkmcnt(0)
	v_add_f64 v[20:21], v[5:6], v[9:10]
	v_add_f64 v[22:23], v[7:8], v[11:12]
	ds_read_b128 v[5:8], v16 offset:32848
	ds_read_b128 v[9:12], v16 offset:32864
	;; [unrolled: 8-line block ×6, first 2 shown]
	s_waitcnt lgkmcnt(1)
	v_add_f64 v[5:6], v[20:21], v[5:6]
	v_add_f64 v[7:8], v[22:23], v[7:8]
	s_waitcnt lgkmcnt(0)
	v_add_f64 v[9:10], v[5:6], v[9:10]
	v_add_f64 v[20:21], v[7:8], v[11:12]
	ds_read_b128 v[5:8], v16 offset:33008
	s_waitcnt lgkmcnt(0)
	v_add_f64 v[11:12], v[9:10], v[5:6]
	v_add_f64 v[9:10], v[20:21], v[7:8]
.LBB9_15:                               ;   in Loop: Header=BB9_6 Depth=1
	s_or_b64 exec, exec, s[14:15]
	s_and_b64 vcc, exec, s[12:13]
	s_cbranch_vccnz .LBB9_18
.LBB9_16:                               ;   in Loop: Header=BB9_6 Depth=1
	v_mov_b32_e32 v3, v9
	v_mov_b32_e32 v1, v11
	;; [unrolled: 1-line block ×4, first 2 shown]
	s_and_saveexec_b64 s[12:13], s[10:11]
	s_cbranch_execnz .LBB9_19
	s_branch .LBB9_20
.LBB9_17:                               ;   in Loop: Header=BB9_6 Depth=1
	s_mov_b64 s[10:11], 0
                                        ; implicit-def: $vgpr9_vgpr10
                                        ; implicit-def: $vgpr11_vgpr12
	s_cbranch_execz .LBB9_16
.LBB9_18:                               ;   in Loop: Header=BB9_6 Depth=1
	s_andn2_b64 s[10:11], s[10:11], exec
	s_and_b64 s[12:13], s[4:5], exec
	s_or_b64 s[10:11], s[10:11], s[12:13]
	s_and_saveexec_b64 s[12:13], s[10:11]
.LBB9_19:                               ;   in Loop: Header=BB9_6 Depth=1
	ds_write_b128 v16, v[1:4] offset:32768
.LBB9_20:                               ;   in Loop: Header=BB9_6 Depth=1
	s_or_b64 exec, exec, s[12:13]
	s_waitcnt vmcnt(0) lgkmcnt(0)
	s_barrier
	s_and_saveexec_b64 s[10:11], s[0:1]
	s_cbranch_execz .LBB9_5
; %bb.21:                               ;   in Loop: Header=BB9_6 Depth=1
	global_load_dwordx4 v[1:4], v16, s[6:7]
	ds_read_b128 v[5:8], v16 offset:32768
	s_mov_b64 s[12:13], 0
	s_waitcnt vmcnt(0) lgkmcnt(0)
	v_mul_f64 v[9:10], v[1:2], v[5:6]
	v_mul_f64 v[11:12], v[1:2], v[7:8]
	v_fma_f64 v[1:2], v[3:4], v[7:8], -v[9:10]
	v_fma_f64 v[3:4], v[5:6], -v[3:4], -v[11:12]
	v_mov_b32_e32 v7, v13
	v_mov_b32_e32 v5, v14
	;; [unrolled: 1-line block ×3, first 2 shown]
.LBB9_22:                               ;   Parent Loop BB9_6 Depth=1
                                        ; =>  This Inner Loop Header: Depth=2
	v_ashrrev_i32_e32 v6, 31, v5
	v_lshlrev_b64 v[9:10], 4, v[5:6]
	v_mov_b32_e32 v11, s23
	v_add_co_u32_e32 v24, vcc, s17, v9
	v_addc_co_u32_e32 v25, vcc, v11, v10, vcc
	global_load_dwordx4 v[9:12], v[24:25], off
	ds_read_b128 v[20:23], v7
	v_add_u32_e32 v8, 0x400, v8
	v_cmp_le_i32_e32 vcc, s19, v8
	v_add_u32_e32 v7, 0x4000, v7
	v_add_u32_e32 v5, s22, v5
	s_waitcnt lgkmcnt(0)
	v_mul_f64 v[26:27], v[3:4], v[22:23]
	v_mul_f64 v[22:23], v[1:2], v[22:23]
	s_or_b64 s[12:13], vcc, s[12:13]
	v_fma_f64 v[26:27], v[1:2], v[20:21], v[26:27]
	v_fma_f64 v[20:21], v[3:4], v[20:21], -v[22:23]
	s_waitcnt vmcnt(0)
	v_add_f64 v[9:10], v[9:10], v[26:27]
	v_add_f64 v[11:12], v[20:21], v[11:12]
	global_store_dwordx4 v[24:25], v[9:12], off
	s_andn2_b64 exec, exec, s[12:13]
	s_cbranch_execnz .LBB9_22
	s_branch .LBB9_5
.LBB9_23:
	s_endpgm
	.section	.rodata,"a",@progbits
	.p2align	6, 0x0
	.amdhsa_kernel _ZN9rocsolver6v33100L23larf_right_kernel_smallILi1024E19rocblas_complex_numIdEiPS3_EEvT1_S5_T2_lS5_lPKT0_lS6_lS5_l
		.amdhsa_group_segment_fixed_size 33024
		.amdhsa_private_segment_fixed_size 0
		.amdhsa_kernarg_size 88
		.amdhsa_user_sgpr_count 6
		.amdhsa_user_sgpr_private_segment_buffer 1
		.amdhsa_user_sgpr_dispatch_ptr 0
		.amdhsa_user_sgpr_queue_ptr 0
		.amdhsa_user_sgpr_kernarg_segment_ptr 1
		.amdhsa_user_sgpr_dispatch_id 0
		.amdhsa_user_sgpr_flat_scratch_init 0
		.amdhsa_user_sgpr_private_segment_size 0
		.amdhsa_uses_dynamic_stack 0
		.amdhsa_system_sgpr_private_segment_wavefront_offset 0
		.amdhsa_system_sgpr_workgroup_id_x 1
		.amdhsa_system_sgpr_workgroup_id_y 1
		.amdhsa_system_sgpr_workgroup_id_z 0
		.amdhsa_system_sgpr_workgroup_info 0
		.amdhsa_system_vgpr_workitem_id 0
		.amdhsa_next_free_vgpr 49
		.amdhsa_next_free_sgpr 98
		.amdhsa_reserve_vcc 1
		.amdhsa_reserve_flat_scratch 0
		.amdhsa_float_round_mode_32 0
		.amdhsa_float_round_mode_16_64 0
		.amdhsa_float_denorm_mode_32 3
		.amdhsa_float_denorm_mode_16_64 3
		.amdhsa_dx10_clamp 1
		.amdhsa_ieee_mode 1
		.amdhsa_fp16_overflow 0
		.amdhsa_exception_fp_ieee_invalid_op 0
		.amdhsa_exception_fp_denorm_src 0
		.amdhsa_exception_fp_ieee_div_zero 0
		.amdhsa_exception_fp_ieee_overflow 0
		.amdhsa_exception_fp_ieee_underflow 0
		.amdhsa_exception_fp_ieee_inexact 0
		.amdhsa_exception_int_div_zero 0
	.end_amdhsa_kernel
	.section	.text._ZN9rocsolver6v33100L23larf_right_kernel_smallILi1024E19rocblas_complex_numIdEiPS3_EEvT1_S5_T2_lS5_lPKT0_lS6_lS5_l,"axG",@progbits,_ZN9rocsolver6v33100L23larf_right_kernel_smallILi1024E19rocblas_complex_numIdEiPS3_EEvT1_S5_T2_lS5_lPKT0_lS6_lS5_l,comdat
.Lfunc_end9:
	.size	_ZN9rocsolver6v33100L23larf_right_kernel_smallILi1024E19rocblas_complex_numIdEiPS3_EEvT1_S5_T2_lS5_lPKT0_lS6_lS5_l, .Lfunc_end9-_ZN9rocsolver6v33100L23larf_right_kernel_smallILi1024E19rocblas_complex_numIdEiPS3_EEvT1_S5_T2_lS5_lPKT0_lS6_lS5_l
                                        ; -- End function
	.set _ZN9rocsolver6v33100L23larf_right_kernel_smallILi1024E19rocblas_complex_numIdEiPS3_EEvT1_S5_T2_lS5_lPKT0_lS6_lS5_l.num_vgpr, 28
	.set _ZN9rocsolver6v33100L23larf_right_kernel_smallILi1024E19rocblas_complex_numIdEiPS3_EEvT1_S5_T2_lS5_lPKT0_lS6_lS5_l.num_agpr, 0
	.set _ZN9rocsolver6v33100L23larf_right_kernel_smallILi1024E19rocblas_complex_numIdEiPS3_EEvT1_S5_T2_lS5_lPKT0_lS6_lS5_l.numbered_sgpr, 28
	.set _ZN9rocsolver6v33100L23larf_right_kernel_smallILi1024E19rocblas_complex_numIdEiPS3_EEvT1_S5_T2_lS5_lPKT0_lS6_lS5_l.num_named_barrier, 0
	.set _ZN9rocsolver6v33100L23larf_right_kernel_smallILi1024E19rocblas_complex_numIdEiPS3_EEvT1_S5_T2_lS5_lPKT0_lS6_lS5_l.private_seg_size, 0
	.set _ZN9rocsolver6v33100L23larf_right_kernel_smallILi1024E19rocblas_complex_numIdEiPS3_EEvT1_S5_T2_lS5_lPKT0_lS6_lS5_l.uses_vcc, 1
	.set _ZN9rocsolver6v33100L23larf_right_kernel_smallILi1024E19rocblas_complex_numIdEiPS3_EEvT1_S5_T2_lS5_lPKT0_lS6_lS5_l.uses_flat_scratch, 0
	.set _ZN9rocsolver6v33100L23larf_right_kernel_smallILi1024E19rocblas_complex_numIdEiPS3_EEvT1_S5_T2_lS5_lPKT0_lS6_lS5_l.has_dyn_sized_stack, 0
	.set _ZN9rocsolver6v33100L23larf_right_kernel_smallILi1024E19rocblas_complex_numIdEiPS3_EEvT1_S5_T2_lS5_lPKT0_lS6_lS5_l.has_recursion, 0
	.set _ZN9rocsolver6v33100L23larf_right_kernel_smallILi1024E19rocblas_complex_numIdEiPS3_EEvT1_S5_T2_lS5_lPKT0_lS6_lS5_l.has_indirect_call, 0
	.section	.AMDGPU.csdata,"",@progbits
; Kernel info:
; codeLenInByte = 1904
; TotalNumSgprs: 32
; NumVgprs: 28
; ScratchSize: 0
; MemoryBound: 0
; FloatMode: 240
; IeeeMode: 1
; LDSByteSize: 33024 bytes/workgroup (compile time only)
; SGPRBlocks: 12
; VGPRBlocks: 12
; NumSGPRsForWavesPerEU: 102
; NumVGPRsForWavesPerEU: 49
; Occupancy: 4
; WaveLimiterHint : 0
; COMPUTE_PGM_RSRC2:SCRATCH_EN: 0
; COMPUTE_PGM_RSRC2:USER_SGPR: 6
; COMPUTE_PGM_RSRC2:TRAP_HANDLER: 0
; COMPUTE_PGM_RSRC2:TGID_X_EN: 1
; COMPUTE_PGM_RSRC2:TGID_Y_EN: 1
; COMPUTE_PGM_RSRC2:TGID_Z_EN: 0
; COMPUTE_PGM_RSRC2:TIDIG_COMP_CNT: 0
	.section	.text._ZN9rocsolver6v33100L22larf_left_kernel_smallILi64E19rocblas_complex_numIdEiPKPS3_EEvT1_S7_T2_lS7_lPKT0_lS8_lS7_l,"axG",@progbits,_ZN9rocsolver6v33100L22larf_left_kernel_smallILi64E19rocblas_complex_numIdEiPKPS3_EEvT1_S7_T2_lS7_lPKT0_lS8_lS7_l,comdat
	.globl	_ZN9rocsolver6v33100L22larf_left_kernel_smallILi64E19rocblas_complex_numIdEiPKPS3_EEvT1_S7_T2_lS7_lPKT0_lS8_lS7_l ; -- Begin function _ZN9rocsolver6v33100L22larf_left_kernel_smallILi64E19rocblas_complex_numIdEiPKPS3_EEvT1_S7_T2_lS7_lPKT0_lS8_lS7_l
	.p2align	8
	.type	_ZN9rocsolver6v33100L22larf_left_kernel_smallILi64E19rocblas_complex_numIdEiPKPS3_EEvT1_S7_T2_lS7_lPKT0_lS8_lS7_l,@function
_ZN9rocsolver6v33100L22larf_left_kernel_smallILi64E19rocblas_complex_numIdEiPKPS3_EEvT1_S7_T2_lS7_lPKT0_lS8_lS7_l: ; @_ZN9rocsolver6v33100L22larf_left_kernel_smallILi64E19rocblas_complex_numIdEiPKPS3_EEvT1_S7_T2_lS7_lPKT0_lS8_lS7_l
; %bb.0:
	s_load_dwordx8 s[8:15], s[4:5], 0x28
	s_load_dwordx2 s[16:17], s[4:5], 0x0
	s_mov_b32 s2, s7
	s_ashr_i32 s7, s6, 31
	s_lshl_b64 s[20:21], s[6:7], 3
	s_waitcnt lgkmcnt(0)
	s_add_u32 s0, s12, s20
	s_addc_u32 s1, s13, s21
	s_load_dwordx2 s[12:13], s[0:1], 0x0
	v_cmp_gt_i32_e64 s[0:1], s16, v0
	v_lshlrev_b32_e32 v11, 4, v0
	s_and_saveexec_b64 s[18:19], s[0:1]
	s_cbranch_execz .LBB10_3
; %bb.1:
	s_load_dwordx4 s[24:27], s[4:5], 0x8
	s_load_dword s28, s[4:5], 0x18
	v_lshlrev_b32_e32 v3, 4, v0
	v_mov_b32_e32 v5, v0
	s_waitcnt lgkmcnt(0)
	s_add_u32 s20, s24, s20
	s_addc_u32 s21, s25, s21
	s_load_dwordx2 s[22:23], s[20:21], 0x0
	s_lshl_b64 s[24:25], s[26:27], 4
	v_mul_lo_u32 v1, v0, s28
	s_mov_b64 s[20:21], 0
	s_waitcnt lgkmcnt(0)
	s_add_u32 s3, s22, s24
	s_addc_u32 s23, s23, s25
	s_sub_i32 s22, 1, s16
	s_mul_i32 s22, s28, s22
	s_cmp_lt_i32 s28, 1
	s_cselect_b32 s24, s22, 0
	s_lshl_b32 s22, s28, 6
	v_add_u32_e32 v1, s24, v1
	v_mov_b32_e32 v4, s23
.LBB10_2:                               ; =>This Inner Loop Header: Depth=1
	v_ashrrev_i32_e32 v2, 31, v1
	v_lshlrev_b64 v[6:7], 4, v[1:2]
	v_add_u32_e32 v5, 64, v5
	v_add_co_u32_e32 v6, vcc, s3, v6
	v_addc_co_u32_e32 v7, vcc, v4, v7, vcc
	flat_load_dwordx4 v[6:9], v[6:7]
	v_cmp_le_i32_e32 vcc, s16, v5
	v_add_u32_e32 v1, s22, v1
	s_or_b64 s[20:21], vcc, s[20:21]
	s_waitcnt vmcnt(0) lgkmcnt(0)
	ds_write2_b64 v3, v[6:7], v[8:9] offset1:1
	v_add_u32_e32 v3, 0x400, v3
	s_andn2_b64 exec, exec, s[20:21]
	s_cbranch_execnz .LBB10_2
.LBB10_3:
	s_or_b64 exec, exec, s[18:19]
	s_cmp_ge_i32 s2, s17
	s_waitcnt lgkmcnt(0)
	; wave barrier
	s_cbranch_scc1 .LBB10_21
; %bb.4:
	s_load_dword s3, s[4:5], 0x48
	s_mul_i32 s4, s10, s7
	s_mul_hi_u32 s5, s10, s6
	s_add_i32 s4, s5, s4
	s_mul_i32 s5, s11, s6
	s_add_i32 s5, s4, s5
	s_mul_i32 s4, s10, s6
	s_lshl_b64 s[4:5], s[4:5], 4
	s_add_u32 s6, s8, s4
	s_addc_u32 s7, s9, s5
	s_cmp_gt_i32 s16, 1
	s_cselect_b64 s[8:9], -1, 0
	s_lshl_b64 s[4:5], s[14:15], 4
	v_lshrrev_b32_e32 v1, 2, v0
	s_add_u32 s4, s12, s4
	s_addc_u32 s5, s13, s5
	v_or_b32_e32 v15, 0x8000, v1
	v_mbcnt_lo_u32_b32 v1, -1, 0
	v_mov_b32_e32 v2, s5
	v_add_co_u32_e32 v13, vcc, s4, v11
	v_mbcnt_hi_u32_b32 v16, -1, v1
	v_mov_b32_e32 v1, 0x80
	v_cmp_eq_u32_e64 s[10:11], 0, v0
	v_mov_b32_e32 v12, 0
	v_addc_co_u32_e32 v14, vcc, 0, v2, vcc
	s_waitcnt lgkmcnt(0)
	s_mul_i32 s12, s2, s3
	s_lshl_b32 s3, s3, 6
	v_and_b32_e32 v17, 63, v16
	v_lshl_or_b32 v18, v16, 2, v1
	s_branch .LBB10_6
.LBB10_5:                               ;   in Loop: Header=BB10_6 Depth=1
	s_or_b64 exec, exec, s[4:5]
	s_add_i32 s2, s2, 64
	s_add_i32 s12, s12, s3
	s_cmp_ge_i32 s2, s17
	s_cbranch_scc1 .LBB10_21
.LBB10_6:                               ; =>This Loop Header: Depth=1
                                        ;     Child Loop BB10_8 Depth 2
                                        ;     Child Loop BB10_20 Depth 2
	s_ashr_i32 s13, s12, 31
	s_lshl_b64 s[4:5], s[12:13], 4
	v_mov_b32_e32 v6, s5
	v_mov_b32_e32 v3, 0
	;; [unrolled: 1-line block ×3, first 2 shown]
	v_add_co_u32_e32 v5, vcc, s4, v13
	v_mov_b32_e32 v4, 0
	v_mov_b32_e32 v2, 0
	v_addc_co_u32_e32 v6, vcc, v14, v6, vcc
	s_and_saveexec_b64 s[14:15], s[0:1]
	s_cbranch_execz .LBB10_10
; %bb.7:                                ;   in Loop: Header=BB10_6 Depth=1
	v_mov_b32_e32 v3, 0
	v_mov_b32_e32 v8, v6
	;; [unrolled: 1-line block ×4, first 2 shown]
	s_mov_b64 s[18:19], 0
	v_mov_b32_e32 v7, v5
	v_mov_b32_e32 v9, v11
	;; [unrolled: 1-line block ×4, first 2 shown]
.LBB10_8:                               ;   Parent Loop BB10_6 Depth=1
                                        ; =>  This Inner Loop Header: Depth=2
	flat_load_dwordx4 v[19:22], v[7:8]
	ds_read_b128 v[23:26], v9
	v_add_u32_e32 v10, 64, v10
	v_add_co_u32_e32 v7, vcc, 0x400, v7
	v_cmp_le_i32_e64 s[4:5], s16, v10
	v_add_u32_e32 v9, 0x400, v9
	s_or_b64 s[18:19], s[4:5], s[18:19]
	v_addc_co_u32_e32 v8, vcc, 0, v8, vcc
	s_waitcnt vmcnt(0) lgkmcnt(0)
	v_mul_f64 v[27:28], v[21:22], v[25:26]
	v_mul_f64 v[21:22], v[21:22], v[23:24]
	v_fma_f64 v[23:24], v[19:20], v[23:24], v[27:28]
	v_fma_f64 v[19:20], v[19:20], v[25:26], -v[21:22]
	v_add_f64 v[1:2], v[1:2], v[23:24]
	v_add_f64 v[3:4], v[3:4], v[19:20]
	s_andn2_b64 exec, exec, s[18:19]
	s_cbranch_execnz .LBB10_8
; %bb.9:                                ;   in Loop: Header=BB10_6 Depth=1
	s_or_b64 exec, exec, s[18:19]
.LBB10_10:                              ;   in Loop: Header=BB10_6 Depth=1
	s_or_b64 exec, exec, s[14:15]
	s_and_b64 vcc, exec, s[8:9]
	s_cbranch_vccz .LBB10_15
; %bb.11:                               ;   in Loop: Header=BB10_6 Depth=1
	v_cmp_ne_u32_e32 vcc, 63, v17
	v_addc_co_u32_e32 v7, vcc, 0, v16, vcc
	v_lshlrev_b32_e32 v10, 2, v7
	ds_bpermute_b32 v7, v10, v1
	ds_bpermute_b32 v8, v10, v2
	;; [unrolled: 1-line block ×4, first 2 shown]
	v_cmp_gt_u32_e32 vcc, 62, v17
	v_cndmask_b32_e64 v19, 0, 2, vcc
	s_waitcnt lgkmcnt(0)
	v_add_f64 v[7:8], v[1:2], v[7:8]
	v_add_lshl_u32 v22, v19, v16, 2
	s_waitcnt lgkmcnt(0)
	v_add_f64 v[9:10], v[3:4], v[9:10]
	v_cmp_gt_u32_e32 vcc, 60, v17
	ds_bpermute_b32 v19, v22, v7
	ds_bpermute_b32 v20, v22, v8
	ds_bpermute_b32 v21, v22, v9
	ds_bpermute_b32 v22, v22, v10
	s_waitcnt lgkmcnt(0)
	v_add_f64 v[7:8], v[7:8], v[19:20]
	v_cndmask_b32_e64 v19, 0, 4, vcc
	s_waitcnt lgkmcnt(0)
	v_add_f64 v[9:10], v[9:10], v[21:22]
	v_add_lshl_u32 v22, v19, v16, 2
	v_cmp_gt_u32_e32 vcc, 56, v17
	ds_bpermute_b32 v19, v22, v7
	ds_bpermute_b32 v20, v22, v8
	ds_bpermute_b32 v21, v22, v9
	ds_bpermute_b32 v22, v22, v10
	s_waitcnt lgkmcnt(0)
	v_add_f64 v[7:8], v[7:8], v[19:20]
	v_cndmask_b32_e64 v19, 0, 8, vcc
	s_waitcnt lgkmcnt(0)
	v_add_f64 v[9:10], v[9:10], v[21:22]
	v_add_lshl_u32 v22, v19, v16, 2
	v_cmp_gt_u32_e32 vcc, 48, v17
	ds_bpermute_b32 v19, v22, v7
	ds_bpermute_b32 v20, v22, v8
	ds_bpermute_b32 v21, v22, v9
	ds_bpermute_b32 v22, v22, v10
	s_waitcnt lgkmcnt(0)
	v_add_f64 v[7:8], v[7:8], v[19:20]
	v_cndmask_b32_e64 v19, 0, 16, vcc
	s_waitcnt lgkmcnt(0)
	v_add_f64 v[9:10], v[9:10], v[21:22]
	v_add_lshl_u32 v22, v19, v16, 2
	ds_bpermute_b32 v19, v22, v7
	ds_bpermute_b32 v20, v22, v8
	;; [unrolled: 1-line block ×4, first 2 shown]
	s_waitcnt lgkmcnt(0)
	v_add_f64 v[7:8], v[7:8], v[19:20]
	s_waitcnt lgkmcnt(0)
	v_add_f64 v[9:10], v[9:10], v[21:22]
	ds_bpermute_b32 v19, v18, v7
	ds_bpermute_b32 v20, v18, v8
	;; [unrolled: 1-line block ×4, first 2 shown]
	s_waitcnt lgkmcnt(0)
	v_add_f64 v[7:8], v[7:8], v[19:20]
	s_waitcnt lgkmcnt(0)
	v_add_f64 v[9:10], v[9:10], v[21:22]
	s_and_saveexec_b64 s[4:5], s[10:11]
; %bb.12:                               ;   in Loop: Header=BB10_6 Depth=1
	ds_write2_b64 v15, v[7:8], v[9:10] offset1:1
; %bb.13:                               ;   in Loop: Header=BB10_6 Depth=1
	s_or_b64 exec, exec, s[4:5]
	s_waitcnt lgkmcnt(0)
	; wave barrier
	s_mov_b64 s[4:5], s[10:11]
.LBB10_14:                              ;   in Loop: Header=BB10_6 Depth=1
	v_mov_b32_e32 v3, v9
	v_mov_b32_e32 v1, v7
	v_mov_b32_e32 v4, v10
	v_mov_b32_e32 v2, v8
	s_and_saveexec_b64 s[14:15], s[4:5]
	s_cbranch_execnz .LBB10_17
	s_branch .LBB10_18
.LBB10_15:                              ;   in Loop: Header=BB10_6 Depth=1
	s_mov_b64 s[4:5], 0
                                        ; implicit-def: $vgpr9_vgpr10
                                        ; implicit-def: $vgpr7_vgpr8
	s_cbranch_execz .LBB10_14
; %bb.16:                               ;   in Loop: Header=BB10_6 Depth=1
	s_andn2_b64 s[4:5], s[4:5], exec
	s_and_b64 s[14:15], s[10:11], exec
	s_or_b64 s[4:5], s[4:5], s[14:15]
	s_and_saveexec_b64 s[14:15], s[4:5]
.LBB10_17:                              ;   in Loop: Header=BB10_6 Depth=1
	ds_write_b128 v12, v[1:4] offset:32768
.LBB10_18:                              ;   in Loop: Header=BB10_6 Depth=1
	s_or_b64 exec, exec, s[14:15]
	s_waitcnt lgkmcnt(0)
	; wave barrier
	s_and_saveexec_b64 s[4:5], s[0:1]
	s_cbranch_execz .LBB10_5
; %bb.19:                               ;   in Loop: Header=BB10_6 Depth=1
	global_load_dwordx4 v[7:10], v12, s[6:7]
	ds_read_b128 v[1:4], v12 offset:32768
	s_mov_b64 s[14:15], 0
	s_waitcnt vmcnt(0) lgkmcnt(0)
	v_mul_f64 v[19:20], v[9:10], v[3:4]
	v_mul_f64 v[9:10], v[9:10], v[1:2]
	v_fma_f64 v[1:2], v[1:2], -v[7:8], -v[19:20]
	v_fma_f64 v[3:4], v[7:8], v[3:4], -v[9:10]
	v_mov_b32_e32 v7, v11
	v_mov_b32_e32 v8, v0
.LBB10_20:                              ;   Parent Loop BB10_6 Depth=1
                                        ; =>  This Inner Loop Header: Depth=2
	flat_load_dwordx4 v[19:22], v[5:6]
	ds_read_b128 v[23:26], v7
	v_add_u32_e32 v8, 64, v8
	v_cmp_le_i32_e32 vcc, s16, v8
	s_or_b64 s[14:15], vcc, s[14:15]
	v_add_u32_e32 v7, 0x400, v7
	s_waitcnt lgkmcnt(0)
	v_mul_f64 v[9:10], v[3:4], v[25:26]
	v_mul_f64 v[25:26], v[1:2], v[25:26]
	v_fma_f64 v[9:10], v[1:2], v[23:24], -v[9:10]
	v_fma_f64 v[23:24], v[3:4], v[23:24], v[25:26]
	s_waitcnt vmcnt(0)
	v_add_f64 v[19:20], v[19:20], v[9:10]
	v_add_f64 v[21:22], v[23:24], v[21:22]
	flat_store_dwordx4 v[5:6], v[19:22]
	v_add_co_u32_e32 v5, vcc, 0x400, v5
	v_addc_co_u32_e32 v6, vcc, 0, v6, vcc
	s_andn2_b64 exec, exec, s[14:15]
	s_cbranch_execnz .LBB10_20
	s_branch .LBB10_5
.LBB10_21:
	s_endpgm
	.section	.rodata,"a",@progbits
	.p2align	6, 0x0
	.amdhsa_kernel _ZN9rocsolver6v33100L22larf_left_kernel_smallILi64E19rocblas_complex_numIdEiPKPS3_EEvT1_S7_T2_lS7_lPKT0_lS8_lS7_l
		.amdhsa_group_segment_fixed_size 33792
		.amdhsa_private_segment_fixed_size 0
		.amdhsa_kernarg_size 88
		.amdhsa_user_sgpr_count 6
		.amdhsa_user_sgpr_private_segment_buffer 1
		.amdhsa_user_sgpr_dispatch_ptr 0
		.amdhsa_user_sgpr_queue_ptr 0
		.amdhsa_user_sgpr_kernarg_segment_ptr 1
		.amdhsa_user_sgpr_dispatch_id 0
		.amdhsa_user_sgpr_flat_scratch_init 0
		.amdhsa_user_sgpr_private_segment_size 0
		.amdhsa_uses_dynamic_stack 0
		.amdhsa_system_sgpr_private_segment_wavefront_offset 0
		.amdhsa_system_sgpr_workgroup_id_x 1
		.amdhsa_system_sgpr_workgroup_id_y 1
		.amdhsa_system_sgpr_workgroup_id_z 0
		.amdhsa_system_sgpr_workgroup_info 0
		.amdhsa_system_vgpr_workitem_id 0
		.amdhsa_next_free_vgpr 129
		.amdhsa_next_free_sgpr 98
		.amdhsa_reserve_vcc 1
		.amdhsa_reserve_flat_scratch 0
		.amdhsa_float_round_mode_32 0
		.amdhsa_float_round_mode_16_64 0
		.amdhsa_float_denorm_mode_32 3
		.amdhsa_float_denorm_mode_16_64 3
		.amdhsa_dx10_clamp 1
		.amdhsa_ieee_mode 1
		.amdhsa_fp16_overflow 0
		.amdhsa_exception_fp_ieee_invalid_op 0
		.amdhsa_exception_fp_denorm_src 0
		.amdhsa_exception_fp_ieee_div_zero 0
		.amdhsa_exception_fp_ieee_overflow 0
		.amdhsa_exception_fp_ieee_underflow 0
		.amdhsa_exception_fp_ieee_inexact 0
		.amdhsa_exception_int_div_zero 0
	.end_amdhsa_kernel
	.section	.text._ZN9rocsolver6v33100L22larf_left_kernel_smallILi64E19rocblas_complex_numIdEiPKPS3_EEvT1_S7_T2_lS7_lPKT0_lS8_lS7_l,"axG",@progbits,_ZN9rocsolver6v33100L22larf_left_kernel_smallILi64E19rocblas_complex_numIdEiPKPS3_EEvT1_S7_T2_lS7_lPKT0_lS8_lS7_l,comdat
.Lfunc_end10:
	.size	_ZN9rocsolver6v33100L22larf_left_kernel_smallILi64E19rocblas_complex_numIdEiPKPS3_EEvT1_S7_T2_lS7_lPKT0_lS8_lS7_l, .Lfunc_end10-_ZN9rocsolver6v33100L22larf_left_kernel_smallILi64E19rocblas_complex_numIdEiPKPS3_EEvT1_S7_T2_lS7_lPKT0_lS8_lS7_l
                                        ; -- End function
	.set _ZN9rocsolver6v33100L22larf_left_kernel_smallILi64E19rocblas_complex_numIdEiPKPS3_EEvT1_S7_T2_lS7_lPKT0_lS8_lS7_l.num_vgpr, 29
	.set _ZN9rocsolver6v33100L22larf_left_kernel_smallILi64E19rocblas_complex_numIdEiPKPS3_EEvT1_S7_T2_lS7_lPKT0_lS8_lS7_l.num_agpr, 0
	.set _ZN9rocsolver6v33100L22larf_left_kernel_smallILi64E19rocblas_complex_numIdEiPKPS3_EEvT1_S7_T2_lS7_lPKT0_lS8_lS7_l.numbered_sgpr, 29
	.set _ZN9rocsolver6v33100L22larf_left_kernel_smallILi64E19rocblas_complex_numIdEiPKPS3_EEvT1_S7_T2_lS7_lPKT0_lS8_lS7_l.num_named_barrier, 0
	.set _ZN9rocsolver6v33100L22larf_left_kernel_smallILi64E19rocblas_complex_numIdEiPKPS3_EEvT1_S7_T2_lS7_lPKT0_lS8_lS7_l.private_seg_size, 0
	.set _ZN9rocsolver6v33100L22larf_left_kernel_smallILi64E19rocblas_complex_numIdEiPKPS3_EEvT1_S7_T2_lS7_lPKT0_lS8_lS7_l.uses_vcc, 1
	.set _ZN9rocsolver6v33100L22larf_left_kernel_smallILi64E19rocblas_complex_numIdEiPKPS3_EEvT1_S7_T2_lS7_lPKT0_lS8_lS7_l.uses_flat_scratch, 0
	.set _ZN9rocsolver6v33100L22larf_left_kernel_smallILi64E19rocblas_complex_numIdEiPKPS3_EEvT1_S7_T2_lS7_lPKT0_lS8_lS7_l.has_dyn_sized_stack, 0
	.set _ZN9rocsolver6v33100L22larf_left_kernel_smallILi64E19rocblas_complex_numIdEiPKPS3_EEvT1_S7_T2_lS7_lPKT0_lS8_lS7_l.has_recursion, 0
	.set _ZN9rocsolver6v33100L22larf_left_kernel_smallILi64E19rocblas_complex_numIdEiPKPS3_EEvT1_S7_T2_lS7_lPKT0_lS8_lS7_l.has_indirect_call, 0
	.section	.AMDGPU.csdata,"",@progbits
; Kernel info:
; codeLenInByte = 1356
; TotalNumSgprs: 33
; NumVgprs: 29
; ScratchSize: 0
; MemoryBound: 0
; FloatMode: 240
; IeeeMode: 1
; LDSByteSize: 33792 bytes/workgroup (compile time only)
; SGPRBlocks: 12
; VGPRBlocks: 32
; NumSGPRsForWavesPerEU: 102
; NumVGPRsForWavesPerEU: 129
; Occupancy: 1
; WaveLimiterHint : 0
; COMPUTE_PGM_RSRC2:SCRATCH_EN: 0
; COMPUTE_PGM_RSRC2:USER_SGPR: 6
; COMPUTE_PGM_RSRC2:TRAP_HANDLER: 0
; COMPUTE_PGM_RSRC2:TGID_X_EN: 1
; COMPUTE_PGM_RSRC2:TGID_Y_EN: 1
; COMPUTE_PGM_RSRC2:TGID_Z_EN: 0
; COMPUTE_PGM_RSRC2:TIDIG_COMP_CNT: 0
	.section	.text._ZN9rocsolver6v33100L22larf_left_kernel_smallILi128E19rocblas_complex_numIdEiPKPS3_EEvT1_S7_T2_lS7_lPKT0_lS8_lS7_l,"axG",@progbits,_ZN9rocsolver6v33100L22larf_left_kernel_smallILi128E19rocblas_complex_numIdEiPKPS3_EEvT1_S7_T2_lS7_lPKT0_lS8_lS7_l,comdat
	.globl	_ZN9rocsolver6v33100L22larf_left_kernel_smallILi128E19rocblas_complex_numIdEiPKPS3_EEvT1_S7_T2_lS7_lPKT0_lS8_lS7_l ; -- Begin function _ZN9rocsolver6v33100L22larf_left_kernel_smallILi128E19rocblas_complex_numIdEiPKPS3_EEvT1_S7_T2_lS7_lPKT0_lS8_lS7_l
	.p2align	8
	.type	_ZN9rocsolver6v33100L22larf_left_kernel_smallILi128E19rocblas_complex_numIdEiPKPS3_EEvT1_S7_T2_lS7_lPKT0_lS8_lS7_l,@function
_ZN9rocsolver6v33100L22larf_left_kernel_smallILi128E19rocblas_complex_numIdEiPKPS3_EEvT1_S7_T2_lS7_lPKT0_lS8_lS7_l: ; @_ZN9rocsolver6v33100L22larf_left_kernel_smallILi128E19rocblas_complex_numIdEiPKPS3_EEvT1_S7_T2_lS7_lPKT0_lS8_lS7_l
; %bb.0:
	s_load_dwordx8 s[12:19], s[4:5], 0x28
	s_load_dwordx2 s[10:11], s[4:5], 0x0
	s_mov_b32 s8, s7
	s_ashr_i32 s7, s6, 31
	s_lshl_b64 s[20:21], s[6:7], 3
	s_waitcnt lgkmcnt(0)
	s_add_u32 s0, s16, s20
	s_addc_u32 s1, s17, s21
	s_load_dwordx2 s[16:17], s[0:1], 0x0
	v_cmp_gt_i32_e64 s[0:1], s10, v0
	v_lshlrev_b32_e32 v15, 4, v0
	s_and_saveexec_b64 s[2:3], s[0:1]
	s_cbranch_execz .LBB11_3
; %bb.1:
	s_load_dwordx4 s[24:27], s[4:5], 0x8
	s_load_dword s28, s[4:5], 0x18
	v_lshlrev_b32_e32 v3, 4, v0
	v_mov_b32_e32 v5, v0
	s_waitcnt lgkmcnt(0)
	s_add_u32 s20, s24, s20
	s_addc_u32 s21, s25, s21
	s_load_dwordx2 s[22:23], s[20:21], 0x0
	s_lshl_b64 s[24:25], s[26:27], 4
	v_mul_lo_u32 v1, v0, s28
	s_mov_b64 s[20:21], 0
	s_waitcnt lgkmcnt(0)
	s_add_u32 s9, s22, s24
	s_addc_u32 s23, s23, s25
	s_sub_i32 s22, 1, s10
	s_mul_i32 s22, s28, s22
	s_cmp_lt_i32 s28, 1
	s_cselect_b32 s24, s22, 0
	s_lshl_b32 s22, s28, 7
	v_add_u32_e32 v1, s24, v1
	v_mov_b32_e32 v4, s23
.LBB11_2:                               ; =>This Inner Loop Header: Depth=1
	v_ashrrev_i32_e32 v2, 31, v1
	v_lshlrev_b64 v[6:7], 4, v[1:2]
	v_add_u32_e32 v5, 0x80, v5
	v_add_co_u32_e32 v6, vcc, s9, v6
	v_addc_co_u32_e32 v7, vcc, v4, v7, vcc
	flat_load_dwordx4 v[6:9], v[6:7]
	v_cmp_le_i32_e32 vcc, s10, v5
	v_add_u32_e32 v1, s22, v1
	s_or_b64 s[20:21], vcc, s[20:21]
	s_waitcnt vmcnt(0) lgkmcnt(0)
	ds_write2_b64 v3, v[6:7], v[8:9] offset1:1
	v_add_u32_e32 v3, 0x800, v3
	s_andn2_b64 exec, exec, s[20:21]
	s_cbranch_execnz .LBB11_2
.LBB11_3:
	s_or_b64 exec, exec, s[2:3]
	s_cmp_ge_i32 s8, s11
	s_waitcnt lgkmcnt(0)
	s_barrier
	s_cbranch_scc1 .LBB11_23
; %bb.4:
	s_mul_i32 s2, s14, s7
	s_mul_hi_u32 s3, s14, s6
	s_add_i32 s2, s3, s2
	s_mul_i32 s3, s15, s6
	s_add_i32 s3, s2, s3
	s_mul_i32 s2, s14, s6
	s_lshl_b64 s[2:3], s[2:3], 4
	s_add_u32 s12, s12, s2
	s_addc_u32 s13, s13, s3
	s_load_dword s9, s[4:5], 0x48
	s_cmp_gt_i32 s10, 1
	s_cselect_b64 s[14:15], -1, 0
	v_and_b32_e32 v1, 63, v0
	s_lshl_b64 s[6:7], s[18:19], 4
	v_cmp_eq_u32_e64 s[2:3], 0, v1
	v_lshrrev_b32_e32 v1, 2, v0
	s_add_u32 s6, s16, s6
	s_addc_u32 s7, s17, s7
	v_or_b32_e32 v19, 0x8000, v1
	v_mbcnt_lo_u32_b32 v1, -1, 0
	v_mov_b32_e32 v2, s7
	v_add_co_u32_e32 v17, vcc, s6, v15
	v_mbcnt_hi_u32_b32 v20, -1, v1
	v_mov_b32_e32 v1, 0x80
	v_cmp_eq_u32_e64 s[4:5], 0, v0
	v_mov_b32_e32 v16, 0
	v_addc_co_u32_e32 v18, vcc, 0, v2, vcc
	s_waitcnt lgkmcnt(0)
	s_mul_i32 s16, s8, s9
	s_lshl_b32 s9, s9, 6
	v_and_b32_e32 v21, 63, v20
	v_lshl_or_b32 v22, v20, 2, v1
	s_branch .LBB11_6
.LBB11_5:                               ;   in Loop: Header=BB11_6 Depth=1
	s_or_b64 exec, exec, s[6:7]
	s_add_i32 s8, s8, 64
	s_add_i32 s16, s16, s9
	s_cmp_ge_i32 s8, s11
	s_cbranch_scc1 .LBB11_23
.LBB11_6:                               ; =>This Loop Header: Depth=1
                                        ;     Child Loop BB11_8 Depth 2
                                        ;     Child Loop BB11_22 Depth 2
	s_ashr_i32 s17, s16, 31
	s_lshl_b64 s[6:7], s[16:17], 4
	v_mov_b32_e32 v6, s7
	v_mov_b32_e32 v3, 0
	;; [unrolled: 1-line block ×3, first 2 shown]
	v_add_co_u32_e32 v5, vcc, s6, v17
	v_mov_b32_e32 v4, 0
	v_mov_b32_e32 v2, 0
	v_addc_co_u32_e32 v6, vcc, v18, v6, vcc
	s_and_saveexec_b64 s[18:19], s[0:1]
	s_cbranch_execz .LBB11_10
; %bb.7:                                ;   in Loop: Header=BB11_6 Depth=1
	v_mov_b32_e32 v3, 0
	v_mov_b32_e32 v8, v6
	;; [unrolled: 1-line block ×4, first 2 shown]
	s_mov_b64 s[20:21], 0
	v_mov_b32_e32 v7, v5
	v_mov_b32_e32 v9, v15
	;; [unrolled: 1-line block ×4, first 2 shown]
.LBB11_8:                               ;   Parent Loop BB11_6 Depth=1
                                        ; =>  This Inner Loop Header: Depth=2
	flat_load_dwordx4 v[11:14], v[7:8]
	ds_read_b128 v[23:26], v9
	v_add_u32_e32 v10, 0x80, v10
	v_add_co_u32_e32 v7, vcc, 0x800, v7
	v_cmp_le_i32_e64 s[6:7], s10, v10
	v_add_u32_e32 v9, 0x800, v9
	s_or_b64 s[20:21], s[6:7], s[20:21]
	v_addc_co_u32_e32 v8, vcc, 0, v8, vcc
	s_waitcnt vmcnt(0) lgkmcnt(0)
	v_mul_f64 v[27:28], v[13:14], v[25:26]
	v_mul_f64 v[13:14], v[13:14], v[23:24]
	v_fma_f64 v[23:24], v[11:12], v[23:24], v[27:28]
	v_fma_f64 v[11:12], v[11:12], v[25:26], -v[13:14]
	v_add_f64 v[1:2], v[1:2], v[23:24]
	v_add_f64 v[3:4], v[3:4], v[11:12]
	s_andn2_b64 exec, exec, s[20:21]
	s_cbranch_execnz .LBB11_8
; %bb.9:                                ;   in Loop: Header=BB11_6 Depth=1
	s_or_b64 exec, exec, s[20:21]
.LBB11_10:                              ;   in Loop: Header=BB11_6 Depth=1
	s_or_b64 exec, exec, s[18:19]
	s_and_b64 vcc, exec, s[14:15]
	s_cbranch_vccz .LBB11_17
; %bb.11:                               ;   in Loop: Header=BB11_6 Depth=1
	v_cmp_ne_u32_e32 vcc, 63, v21
	v_addc_co_u32_e32 v7, vcc, 0, v20, vcc
	v_lshlrev_b32_e32 v10, 2, v7
	ds_bpermute_b32 v7, v10, v1
	ds_bpermute_b32 v8, v10, v2
	;; [unrolled: 1-line block ×4, first 2 shown]
	v_cmp_gt_u32_e32 vcc, 62, v21
	v_cndmask_b32_e64 v11, 0, 2, vcc
	s_waitcnt lgkmcnt(0)
	v_add_f64 v[7:8], v[1:2], v[7:8]
	v_add_lshl_u32 v14, v11, v20, 2
	s_waitcnt lgkmcnt(0)
	v_add_f64 v[9:10], v[3:4], v[9:10]
	v_cmp_gt_u32_e32 vcc, 60, v21
	ds_bpermute_b32 v11, v14, v7
	ds_bpermute_b32 v12, v14, v8
	ds_bpermute_b32 v13, v14, v9
	ds_bpermute_b32 v14, v14, v10
	s_waitcnt lgkmcnt(0)
	v_add_f64 v[7:8], v[7:8], v[11:12]
	v_cndmask_b32_e64 v11, 0, 4, vcc
	s_waitcnt lgkmcnt(0)
	v_add_f64 v[9:10], v[9:10], v[13:14]
	v_add_lshl_u32 v14, v11, v20, 2
	v_cmp_gt_u32_e32 vcc, 56, v21
	ds_bpermute_b32 v11, v14, v7
	ds_bpermute_b32 v12, v14, v8
	ds_bpermute_b32 v13, v14, v9
	ds_bpermute_b32 v14, v14, v10
	s_waitcnt lgkmcnt(0)
	v_add_f64 v[7:8], v[7:8], v[11:12]
	v_cndmask_b32_e64 v11, 0, 8, vcc
	s_waitcnt lgkmcnt(0)
	v_add_f64 v[9:10], v[9:10], v[13:14]
	v_add_lshl_u32 v14, v11, v20, 2
	;; [unrolled: 11-line block ×3, first 2 shown]
	ds_bpermute_b32 v11, v14, v7
	ds_bpermute_b32 v12, v14, v8
	;; [unrolled: 1-line block ×4, first 2 shown]
	s_waitcnt lgkmcnt(0)
	v_add_f64 v[7:8], v[7:8], v[11:12]
	s_waitcnt lgkmcnt(0)
	v_add_f64 v[11:12], v[9:10], v[13:14]
	ds_bpermute_b32 v9, v22, v7
	ds_bpermute_b32 v10, v22, v8
	;; [unrolled: 1-line block ×4, first 2 shown]
	s_waitcnt lgkmcnt(0)
	v_add_f64 v[9:10], v[7:8], v[9:10]
	s_waitcnt lgkmcnt(0)
	v_add_f64 v[13:14], v[11:12], v[13:14]
	s_and_saveexec_b64 s[6:7], s[2:3]
; %bb.12:                               ;   in Loop: Header=BB11_6 Depth=1
	ds_write2_b64 v19, v[9:10], v[13:14] offset1:1
; %bb.13:                               ;   in Loop: Header=BB11_6 Depth=1
	s_or_b64 exec, exec, s[6:7]
	s_mov_b64 s[18:19], 0
	s_mov_b64 s[6:7], 0
	s_waitcnt vmcnt(0) lgkmcnt(0)
	s_barrier
                                        ; implicit-def: $vgpr7_vgpr8
                                        ; implicit-def: $vgpr11_vgpr12
	s_and_saveexec_b64 s[20:21], s[4:5]
	s_xor_b64 s[20:21], exec, s[20:21]
	s_cbranch_execz .LBB11_15
; %bb.14:                               ;   in Loop: Header=BB11_6 Depth=1
	ds_read_b128 v[23:26], v16 offset:32784
	s_mov_b64 s[6:7], exec
	s_waitcnt lgkmcnt(0)
	v_add_f64 v[7:8], v[13:14], v[25:26]
	v_add_f64 v[11:12], v[9:10], v[23:24]
.LBB11_15:                              ;   in Loop: Header=BB11_6 Depth=1
	s_or_b64 exec, exec, s[20:21]
	s_and_b64 vcc, exec, s[18:19]
	s_cbranch_vccnz .LBB11_18
.LBB11_16:                              ;   in Loop: Header=BB11_6 Depth=1
	v_mov_b32_e32 v3, v7
	v_mov_b32_e32 v1, v11
	;; [unrolled: 1-line block ×4, first 2 shown]
	s_and_saveexec_b64 s[18:19], s[6:7]
	s_cbranch_execnz .LBB11_19
	s_branch .LBB11_20
.LBB11_17:                              ;   in Loop: Header=BB11_6 Depth=1
	s_mov_b64 s[6:7], 0
                                        ; implicit-def: $vgpr7_vgpr8
                                        ; implicit-def: $vgpr11_vgpr12
	s_cbranch_execz .LBB11_16
.LBB11_18:                              ;   in Loop: Header=BB11_6 Depth=1
	s_andn2_b64 s[6:7], s[6:7], exec
	s_and_b64 s[18:19], s[4:5], exec
	s_or_b64 s[6:7], s[6:7], s[18:19]
	s_and_saveexec_b64 s[18:19], s[6:7]
.LBB11_19:                              ;   in Loop: Header=BB11_6 Depth=1
	ds_write_b128 v16, v[1:4] offset:32768
.LBB11_20:                              ;   in Loop: Header=BB11_6 Depth=1
	s_or_b64 exec, exec, s[18:19]
	s_waitcnt vmcnt(0) lgkmcnt(0)
	s_barrier
	s_and_saveexec_b64 s[6:7], s[0:1]
	s_cbranch_execz .LBB11_5
; %bb.21:                               ;   in Loop: Header=BB11_6 Depth=1
	global_load_dwordx4 v[7:10], v16, s[12:13]
	ds_read_b128 v[1:4], v16 offset:32768
	s_mov_b64 s[18:19], 0
	s_waitcnt vmcnt(0) lgkmcnt(0)
	v_mul_f64 v[11:12], v[9:10], v[3:4]
	v_mul_f64 v[9:10], v[9:10], v[1:2]
	v_fma_f64 v[1:2], v[1:2], -v[7:8], -v[11:12]
	v_fma_f64 v[3:4], v[7:8], v[3:4], -v[9:10]
	v_mov_b32_e32 v7, v15
	v_mov_b32_e32 v8, v0
.LBB11_22:                              ;   Parent Loop BB11_6 Depth=1
                                        ; =>  This Inner Loop Header: Depth=2
	flat_load_dwordx4 v[9:12], v[5:6]
	ds_read_b128 v[23:26], v7
	v_add_u32_e32 v8, 0x80, v8
	v_cmp_le_i32_e32 vcc, s10, v8
	s_or_b64 s[18:19], vcc, s[18:19]
	v_add_u32_e32 v7, 0x800, v7
	s_waitcnt lgkmcnt(0)
	v_mul_f64 v[13:14], v[3:4], v[25:26]
	v_mul_f64 v[25:26], v[1:2], v[25:26]
	v_fma_f64 v[13:14], v[1:2], v[23:24], -v[13:14]
	v_fma_f64 v[23:24], v[3:4], v[23:24], v[25:26]
	s_waitcnt vmcnt(0)
	v_add_f64 v[9:10], v[9:10], v[13:14]
	v_add_f64 v[11:12], v[23:24], v[11:12]
	flat_store_dwordx4 v[5:6], v[9:12]
	v_add_co_u32_e32 v5, vcc, 0x800, v5
	v_addc_co_u32_e32 v6, vcc, 0, v6, vcc
	s_andn2_b64 exec, exec, s[18:19]
	s_cbranch_execnz .LBB11_22
	s_branch .LBB11_5
.LBB11_23:
	s_endpgm
	.section	.rodata,"a",@progbits
	.p2align	6, 0x0
	.amdhsa_kernel _ZN9rocsolver6v33100L22larf_left_kernel_smallILi128E19rocblas_complex_numIdEiPKPS3_EEvT1_S7_T2_lS7_lPKT0_lS8_lS7_l
		.amdhsa_group_segment_fixed_size 34816
		.amdhsa_private_segment_fixed_size 0
		.amdhsa_kernarg_size 88
		.amdhsa_user_sgpr_count 6
		.amdhsa_user_sgpr_private_segment_buffer 1
		.amdhsa_user_sgpr_dispatch_ptr 0
		.amdhsa_user_sgpr_queue_ptr 0
		.amdhsa_user_sgpr_kernarg_segment_ptr 1
		.amdhsa_user_sgpr_dispatch_id 0
		.amdhsa_user_sgpr_flat_scratch_init 0
		.amdhsa_user_sgpr_private_segment_size 0
		.amdhsa_uses_dynamic_stack 0
		.amdhsa_system_sgpr_private_segment_wavefront_offset 0
		.amdhsa_system_sgpr_workgroup_id_x 1
		.amdhsa_system_sgpr_workgroup_id_y 1
		.amdhsa_system_sgpr_workgroup_id_z 0
		.amdhsa_system_sgpr_workgroup_info 0
		.amdhsa_system_vgpr_workitem_id 0
		.amdhsa_next_free_vgpr 129
		.amdhsa_next_free_sgpr 98
		.amdhsa_reserve_vcc 1
		.amdhsa_reserve_flat_scratch 0
		.amdhsa_float_round_mode_32 0
		.amdhsa_float_round_mode_16_64 0
		.amdhsa_float_denorm_mode_32 3
		.amdhsa_float_denorm_mode_16_64 3
		.amdhsa_dx10_clamp 1
		.amdhsa_ieee_mode 1
		.amdhsa_fp16_overflow 0
		.amdhsa_exception_fp_ieee_invalid_op 0
		.amdhsa_exception_fp_denorm_src 0
		.amdhsa_exception_fp_ieee_div_zero 0
		.amdhsa_exception_fp_ieee_overflow 0
		.amdhsa_exception_fp_ieee_underflow 0
		.amdhsa_exception_fp_ieee_inexact 0
		.amdhsa_exception_int_div_zero 0
	.end_amdhsa_kernel
	.section	.text._ZN9rocsolver6v33100L22larf_left_kernel_smallILi128E19rocblas_complex_numIdEiPKPS3_EEvT1_S7_T2_lS7_lPKT0_lS8_lS7_l,"axG",@progbits,_ZN9rocsolver6v33100L22larf_left_kernel_smallILi128E19rocblas_complex_numIdEiPKPS3_EEvT1_S7_T2_lS7_lPKT0_lS8_lS7_l,comdat
.Lfunc_end11:
	.size	_ZN9rocsolver6v33100L22larf_left_kernel_smallILi128E19rocblas_complex_numIdEiPKPS3_EEvT1_S7_T2_lS7_lPKT0_lS8_lS7_l, .Lfunc_end11-_ZN9rocsolver6v33100L22larf_left_kernel_smallILi128E19rocblas_complex_numIdEiPKPS3_EEvT1_S7_T2_lS7_lPKT0_lS8_lS7_l
                                        ; -- End function
	.set _ZN9rocsolver6v33100L22larf_left_kernel_smallILi128E19rocblas_complex_numIdEiPKPS3_EEvT1_S7_T2_lS7_lPKT0_lS8_lS7_l.num_vgpr, 29
	.set _ZN9rocsolver6v33100L22larf_left_kernel_smallILi128E19rocblas_complex_numIdEiPKPS3_EEvT1_S7_T2_lS7_lPKT0_lS8_lS7_l.num_agpr, 0
	.set _ZN9rocsolver6v33100L22larf_left_kernel_smallILi128E19rocblas_complex_numIdEiPKPS3_EEvT1_S7_T2_lS7_lPKT0_lS8_lS7_l.numbered_sgpr, 29
	.set _ZN9rocsolver6v33100L22larf_left_kernel_smallILi128E19rocblas_complex_numIdEiPKPS3_EEvT1_S7_T2_lS7_lPKT0_lS8_lS7_l.num_named_barrier, 0
	.set _ZN9rocsolver6v33100L22larf_left_kernel_smallILi128E19rocblas_complex_numIdEiPKPS3_EEvT1_S7_T2_lS7_lPKT0_lS8_lS7_l.private_seg_size, 0
	.set _ZN9rocsolver6v33100L22larf_left_kernel_smallILi128E19rocblas_complex_numIdEiPKPS3_EEvT1_S7_T2_lS7_lPKT0_lS8_lS7_l.uses_vcc, 1
	.set _ZN9rocsolver6v33100L22larf_left_kernel_smallILi128E19rocblas_complex_numIdEiPKPS3_EEvT1_S7_T2_lS7_lPKT0_lS8_lS7_l.uses_flat_scratch, 0
	.set _ZN9rocsolver6v33100L22larf_left_kernel_smallILi128E19rocblas_complex_numIdEiPKPS3_EEvT1_S7_T2_lS7_lPKT0_lS8_lS7_l.has_dyn_sized_stack, 0
	.set _ZN9rocsolver6v33100L22larf_left_kernel_smallILi128E19rocblas_complex_numIdEiPKPS3_EEvT1_S7_T2_lS7_lPKT0_lS8_lS7_l.has_recursion, 0
	.set _ZN9rocsolver6v33100L22larf_left_kernel_smallILi128E19rocblas_complex_numIdEiPKPS3_EEvT1_S7_T2_lS7_lPKT0_lS8_lS7_l.has_indirect_call, 0
	.section	.AMDGPU.csdata,"",@progbits
; Kernel info:
; codeLenInByte = 1452
; TotalNumSgprs: 33
; NumVgprs: 29
; ScratchSize: 0
; MemoryBound: 0
; FloatMode: 240
; IeeeMode: 1
; LDSByteSize: 34816 bytes/workgroup (compile time only)
; SGPRBlocks: 12
; VGPRBlocks: 32
; NumSGPRsForWavesPerEU: 102
; NumVGPRsForWavesPerEU: 129
; Occupancy: 1
; WaveLimiterHint : 0
; COMPUTE_PGM_RSRC2:SCRATCH_EN: 0
; COMPUTE_PGM_RSRC2:USER_SGPR: 6
; COMPUTE_PGM_RSRC2:TRAP_HANDLER: 0
; COMPUTE_PGM_RSRC2:TGID_X_EN: 1
; COMPUTE_PGM_RSRC2:TGID_Y_EN: 1
; COMPUTE_PGM_RSRC2:TGID_Z_EN: 0
; COMPUTE_PGM_RSRC2:TIDIG_COMP_CNT: 0
	.section	.text._ZN9rocsolver6v33100L22larf_left_kernel_smallILi256E19rocblas_complex_numIdEiPKPS3_EEvT1_S7_T2_lS7_lPKT0_lS8_lS7_l,"axG",@progbits,_ZN9rocsolver6v33100L22larf_left_kernel_smallILi256E19rocblas_complex_numIdEiPKPS3_EEvT1_S7_T2_lS7_lPKT0_lS8_lS7_l,comdat
	.globl	_ZN9rocsolver6v33100L22larf_left_kernel_smallILi256E19rocblas_complex_numIdEiPKPS3_EEvT1_S7_T2_lS7_lPKT0_lS8_lS7_l ; -- Begin function _ZN9rocsolver6v33100L22larf_left_kernel_smallILi256E19rocblas_complex_numIdEiPKPS3_EEvT1_S7_T2_lS7_lPKT0_lS8_lS7_l
	.p2align	8
	.type	_ZN9rocsolver6v33100L22larf_left_kernel_smallILi256E19rocblas_complex_numIdEiPKPS3_EEvT1_S7_T2_lS7_lPKT0_lS8_lS7_l,@function
_ZN9rocsolver6v33100L22larf_left_kernel_smallILi256E19rocblas_complex_numIdEiPKPS3_EEvT1_S7_T2_lS7_lPKT0_lS8_lS7_l: ; @_ZN9rocsolver6v33100L22larf_left_kernel_smallILi256E19rocblas_complex_numIdEiPKPS3_EEvT1_S7_T2_lS7_lPKT0_lS8_lS7_l
; %bb.0:
	s_load_dwordx8 s[12:19], s[4:5], 0x28
	s_load_dwordx2 s[10:11], s[4:5], 0x0
	s_mov_b32 s8, s7
	s_ashr_i32 s7, s6, 31
	s_lshl_b64 s[20:21], s[6:7], 3
	s_waitcnt lgkmcnt(0)
	s_add_u32 s0, s16, s20
	s_addc_u32 s1, s17, s21
	s_load_dwordx2 s[16:17], s[0:1], 0x0
	v_cmp_gt_i32_e64 s[0:1], s10, v0
	v_lshlrev_b32_e32 v15, 4, v0
	s_and_saveexec_b64 s[2:3], s[0:1]
	s_cbranch_execz .LBB12_3
; %bb.1:
	s_load_dwordx4 s[24:27], s[4:5], 0x8
	s_load_dword s28, s[4:5], 0x18
	v_lshlrev_b32_e32 v3, 4, v0
	v_mov_b32_e32 v5, v0
	s_waitcnt lgkmcnt(0)
	s_add_u32 s20, s24, s20
	s_addc_u32 s21, s25, s21
	s_load_dwordx2 s[22:23], s[20:21], 0x0
	s_lshl_b64 s[24:25], s[26:27], 4
	v_mul_lo_u32 v1, v0, s28
	s_mov_b64 s[20:21], 0
	s_waitcnt lgkmcnt(0)
	s_add_u32 s9, s22, s24
	s_addc_u32 s23, s23, s25
	s_sub_i32 s22, 1, s10
	s_mul_i32 s22, s28, s22
	s_cmp_lt_i32 s28, 1
	s_cselect_b32 s24, s22, 0
	s_lshl_b32 s22, s28, 8
	v_add_u32_e32 v1, s24, v1
	v_mov_b32_e32 v4, s23
.LBB12_2:                               ; =>This Inner Loop Header: Depth=1
	v_ashrrev_i32_e32 v2, 31, v1
	v_lshlrev_b64 v[6:7], 4, v[1:2]
	v_add_u32_e32 v5, 0x100, v5
	v_add_co_u32_e32 v6, vcc, s9, v6
	v_addc_co_u32_e32 v7, vcc, v4, v7, vcc
	flat_load_dwordx4 v[6:9], v[6:7]
	v_cmp_le_i32_e32 vcc, s10, v5
	v_add_u32_e32 v1, s22, v1
	s_or_b64 s[20:21], vcc, s[20:21]
	s_waitcnt vmcnt(0) lgkmcnt(0)
	ds_write2_b64 v3, v[6:7], v[8:9] offset1:1
	v_add_u32_e32 v3, 0x1000, v3
	s_andn2_b64 exec, exec, s[20:21]
	s_cbranch_execnz .LBB12_2
.LBB12_3:
	s_or_b64 exec, exec, s[2:3]
	s_cmp_ge_i32 s8, s11
	s_waitcnt lgkmcnt(0)
	s_barrier
	s_cbranch_scc1 .LBB12_23
; %bb.4:
	s_mul_i32 s2, s14, s7
	s_mul_hi_u32 s3, s14, s6
	s_add_i32 s2, s3, s2
	s_mul_i32 s3, s15, s6
	s_add_i32 s3, s2, s3
	s_mul_i32 s2, s14, s6
	s_lshl_b64 s[2:3], s[2:3], 4
	s_add_u32 s12, s12, s2
	s_addc_u32 s13, s13, s3
	s_load_dword s9, s[4:5], 0x48
	s_cmp_gt_i32 s10, 1
	s_cselect_b64 s[14:15], -1, 0
	v_and_b32_e32 v1, 63, v0
	s_lshl_b64 s[6:7], s[18:19], 4
	v_cmp_eq_u32_e64 s[2:3], 0, v1
	v_lshrrev_b32_e32 v1, 2, v0
	s_add_u32 s6, s16, s6
	s_addc_u32 s7, s17, s7
	v_or_b32_e32 v19, 0x8000, v1
	v_mbcnt_lo_u32_b32 v1, -1, 0
	v_mov_b32_e32 v2, s7
	v_add_co_u32_e32 v17, vcc, s6, v15
	v_mbcnt_hi_u32_b32 v20, -1, v1
	v_mov_b32_e32 v1, 0x80
	v_cmp_eq_u32_e64 s[4:5], 0, v0
	v_mov_b32_e32 v16, 0
	v_addc_co_u32_e32 v18, vcc, 0, v2, vcc
	s_waitcnt lgkmcnt(0)
	s_mul_i32 s16, s8, s9
	s_lshl_b32 s9, s9, 6
	v_and_b32_e32 v21, 63, v20
	v_lshl_or_b32 v22, v20, 2, v1
	s_branch .LBB12_6
.LBB12_5:                               ;   in Loop: Header=BB12_6 Depth=1
	s_or_b64 exec, exec, s[6:7]
	s_add_i32 s8, s8, 64
	s_add_i32 s16, s16, s9
	s_cmp_ge_i32 s8, s11
	s_cbranch_scc1 .LBB12_23
.LBB12_6:                               ; =>This Loop Header: Depth=1
                                        ;     Child Loop BB12_8 Depth 2
                                        ;     Child Loop BB12_22 Depth 2
	s_ashr_i32 s17, s16, 31
	s_lshl_b64 s[6:7], s[16:17], 4
	v_mov_b32_e32 v6, s7
	v_mov_b32_e32 v3, 0
	;; [unrolled: 1-line block ×3, first 2 shown]
	v_add_co_u32_e32 v5, vcc, s6, v17
	v_mov_b32_e32 v4, 0
	v_mov_b32_e32 v2, 0
	v_addc_co_u32_e32 v6, vcc, v18, v6, vcc
	s_and_saveexec_b64 s[18:19], s[0:1]
	s_cbranch_execz .LBB12_10
; %bb.7:                                ;   in Loop: Header=BB12_6 Depth=1
	v_mov_b32_e32 v3, 0
	v_mov_b32_e32 v8, v6
	;; [unrolled: 1-line block ×4, first 2 shown]
	s_mov_b64 s[20:21], 0
	v_mov_b32_e32 v7, v5
	v_mov_b32_e32 v9, v15
	v_mov_b32_e32 v2, 0
	v_mov_b32_e32 v10, v0
.LBB12_8:                               ;   Parent Loop BB12_6 Depth=1
                                        ; =>  This Inner Loop Header: Depth=2
	flat_load_dwordx4 v[11:14], v[7:8]
	ds_read_b128 v[23:26], v9
	v_add_u32_e32 v10, 0x100, v10
	v_add_co_u32_e32 v7, vcc, 0x1000, v7
	v_cmp_le_i32_e64 s[6:7], s10, v10
	v_add_u32_e32 v9, 0x1000, v9
	s_or_b64 s[20:21], s[6:7], s[20:21]
	v_addc_co_u32_e32 v8, vcc, 0, v8, vcc
	s_waitcnt vmcnt(0) lgkmcnt(0)
	v_mul_f64 v[27:28], v[13:14], v[25:26]
	v_mul_f64 v[13:14], v[13:14], v[23:24]
	v_fma_f64 v[23:24], v[11:12], v[23:24], v[27:28]
	v_fma_f64 v[11:12], v[11:12], v[25:26], -v[13:14]
	v_add_f64 v[1:2], v[1:2], v[23:24]
	v_add_f64 v[3:4], v[3:4], v[11:12]
	s_andn2_b64 exec, exec, s[20:21]
	s_cbranch_execnz .LBB12_8
; %bb.9:                                ;   in Loop: Header=BB12_6 Depth=1
	s_or_b64 exec, exec, s[20:21]
.LBB12_10:                              ;   in Loop: Header=BB12_6 Depth=1
	s_or_b64 exec, exec, s[18:19]
	s_and_b64 vcc, exec, s[14:15]
	s_cbranch_vccz .LBB12_17
; %bb.11:                               ;   in Loop: Header=BB12_6 Depth=1
	v_cmp_ne_u32_e32 vcc, 63, v21
	v_addc_co_u32_e32 v7, vcc, 0, v20, vcc
	v_lshlrev_b32_e32 v10, 2, v7
	ds_bpermute_b32 v7, v10, v1
	ds_bpermute_b32 v8, v10, v2
	;; [unrolled: 1-line block ×4, first 2 shown]
	v_cmp_gt_u32_e32 vcc, 62, v21
	v_cndmask_b32_e64 v11, 0, 2, vcc
	s_waitcnt lgkmcnt(0)
	v_add_f64 v[7:8], v[1:2], v[7:8]
	v_add_lshl_u32 v14, v11, v20, 2
	s_waitcnt lgkmcnt(0)
	v_add_f64 v[9:10], v[3:4], v[9:10]
	v_cmp_gt_u32_e32 vcc, 60, v21
	ds_bpermute_b32 v11, v14, v7
	ds_bpermute_b32 v12, v14, v8
	ds_bpermute_b32 v13, v14, v9
	ds_bpermute_b32 v14, v14, v10
	s_waitcnt lgkmcnt(0)
	v_add_f64 v[7:8], v[7:8], v[11:12]
	v_cndmask_b32_e64 v11, 0, 4, vcc
	s_waitcnt lgkmcnt(0)
	v_add_f64 v[9:10], v[9:10], v[13:14]
	v_add_lshl_u32 v14, v11, v20, 2
	v_cmp_gt_u32_e32 vcc, 56, v21
	ds_bpermute_b32 v11, v14, v7
	ds_bpermute_b32 v12, v14, v8
	ds_bpermute_b32 v13, v14, v9
	ds_bpermute_b32 v14, v14, v10
	s_waitcnt lgkmcnt(0)
	v_add_f64 v[7:8], v[7:8], v[11:12]
	v_cndmask_b32_e64 v11, 0, 8, vcc
	s_waitcnt lgkmcnt(0)
	v_add_f64 v[9:10], v[9:10], v[13:14]
	v_add_lshl_u32 v14, v11, v20, 2
	;; [unrolled: 11-line block ×3, first 2 shown]
	ds_bpermute_b32 v11, v14, v7
	ds_bpermute_b32 v12, v14, v8
	;; [unrolled: 1-line block ×4, first 2 shown]
	s_waitcnt lgkmcnt(0)
	v_add_f64 v[7:8], v[7:8], v[11:12]
	s_waitcnt lgkmcnt(0)
	v_add_f64 v[9:10], v[9:10], v[13:14]
	ds_bpermute_b32 v11, v22, v7
	ds_bpermute_b32 v12, v22, v8
	;; [unrolled: 1-line block ×4, first 2 shown]
	s_waitcnt lgkmcnt(0)
	v_add_f64 v[7:8], v[7:8], v[11:12]
	s_waitcnt lgkmcnt(0)
	v_add_f64 v[9:10], v[9:10], v[13:14]
	s_and_saveexec_b64 s[6:7], s[2:3]
; %bb.12:                               ;   in Loop: Header=BB12_6 Depth=1
	ds_write2_b64 v19, v[7:8], v[9:10] offset1:1
; %bb.13:                               ;   in Loop: Header=BB12_6 Depth=1
	s_or_b64 exec, exec, s[6:7]
	s_mov_b64 s[18:19], 0
	s_mov_b64 s[6:7], 0
	s_waitcnt vmcnt(0) lgkmcnt(0)
	s_barrier
                                        ; implicit-def: $vgpr11_vgpr12
                                        ; implicit-def: $vgpr13_vgpr14
	s_and_saveexec_b64 s[20:21], s[4:5]
	s_xor_b64 s[20:21], exec, s[20:21]
	s_cbranch_execz .LBB12_15
; %bb.14:                               ;   in Loop: Header=BB12_6 Depth=1
	ds_read_b128 v[11:14], v16 offset:32784
	ds_read_b128 v[23:26], v16 offset:32800
	s_mov_b64 s[6:7], exec
	s_waitcnt lgkmcnt(1)
	v_add_f64 v[7:8], v[7:8], v[11:12]
	v_add_f64 v[9:10], v[9:10], v[13:14]
	s_waitcnt lgkmcnt(0)
	v_add_f64 v[11:12], v[7:8], v[23:24]
	v_add_f64 v[23:24], v[9:10], v[25:26]
	ds_read_b128 v[7:10], v16 offset:32816
	s_waitcnt lgkmcnt(0)
	v_add_f64 v[13:14], v[11:12], v[7:8]
	v_add_f64 v[11:12], v[23:24], v[9:10]
.LBB12_15:                              ;   in Loop: Header=BB12_6 Depth=1
	s_or_b64 exec, exec, s[20:21]
	s_and_b64 vcc, exec, s[18:19]
	s_cbranch_vccnz .LBB12_18
.LBB12_16:                              ;   in Loop: Header=BB12_6 Depth=1
	v_mov_b32_e32 v3, v11
	v_mov_b32_e32 v1, v13
	;; [unrolled: 1-line block ×4, first 2 shown]
	s_and_saveexec_b64 s[18:19], s[6:7]
	s_cbranch_execnz .LBB12_19
	s_branch .LBB12_20
.LBB12_17:                              ;   in Loop: Header=BB12_6 Depth=1
	s_mov_b64 s[6:7], 0
                                        ; implicit-def: $vgpr11_vgpr12
                                        ; implicit-def: $vgpr13_vgpr14
	s_cbranch_execz .LBB12_16
.LBB12_18:                              ;   in Loop: Header=BB12_6 Depth=1
	s_andn2_b64 s[6:7], s[6:7], exec
	s_and_b64 s[18:19], s[4:5], exec
	s_or_b64 s[6:7], s[6:7], s[18:19]
	s_and_saveexec_b64 s[18:19], s[6:7]
.LBB12_19:                              ;   in Loop: Header=BB12_6 Depth=1
	ds_write_b128 v16, v[1:4] offset:32768
.LBB12_20:                              ;   in Loop: Header=BB12_6 Depth=1
	s_or_b64 exec, exec, s[18:19]
	s_waitcnt vmcnt(0) lgkmcnt(0)
	s_barrier
	s_and_saveexec_b64 s[6:7], s[0:1]
	s_cbranch_execz .LBB12_5
; %bb.21:                               ;   in Loop: Header=BB12_6 Depth=1
	global_load_dwordx4 v[7:10], v16, s[12:13]
	ds_read_b128 v[1:4], v16 offset:32768
	s_mov_b64 s[18:19], 0
	s_waitcnt vmcnt(0) lgkmcnt(0)
	v_mul_f64 v[11:12], v[9:10], v[3:4]
	v_mul_f64 v[9:10], v[9:10], v[1:2]
	v_fma_f64 v[1:2], v[1:2], -v[7:8], -v[11:12]
	v_fma_f64 v[3:4], v[7:8], v[3:4], -v[9:10]
	v_mov_b32_e32 v7, v15
	v_mov_b32_e32 v8, v0
.LBB12_22:                              ;   Parent Loop BB12_6 Depth=1
                                        ; =>  This Inner Loop Header: Depth=2
	flat_load_dwordx4 v[9:12], v[5:6]
	ds_read_b128 v[23:26], v7
	v_add_u32_e32 v8, 0x100, v8
	v_cmp_le_i32_e32 vcc, s10, v8
	s_or_b64 s[18:19], vcc, s[18:19]
	v_add_u32_e32 v7, 0x1000, v7
	s_waitcnt lgkmcnt(0)
	v_mul_f64 v[13:14], v[3:4], v[25:26]
	v_mul_f64 v[25:26], v[1:2], v[25:26]
	v_fma_f64 v[13:14], v[1:2], v[23:24], -v[13:14]
	v_fma_f64 v[23:24], v[3:4], v[23:24], v[25:26]
	s_waitcnt vmcnt(0)
	v_add_f64 v[9:10], v[9:10], v[13:14]
	v_add_f64 v[11:12], v[23:24], v[11:12]
	flat_store_dwordx4 v[5:6], v[9:12]
	v_add_co_u32_e32 v5, vcc, 0x1000, v5
	v_addc_co_u32_e32 v6, vcc, 0, v6, vcc
	s_andn2_b64 exec, exec, s[18:19]
	s_cbranch_execnz .LBB12_22
	s_branch .LBB12_5
.LBB12_23:
	s_endpgm
	.section	.rodata,"a",@progbits
	.p2align	6, 0x0
	.amdhsa_kernel _ZN9rocsolver6v33100L22larf_left_kernel_smallILi256E19rocblas_complex_numIdEiPKPS3_EEvT1_S7_T2_lS7_lPKT0_lS8_lS7_l
		.amdhsa_group_segment_fixed_size 36864
		.amdhsa_private_segment_fixed_size 0
		.amdhsa_kernarg_size 88
		.amdhsa_user_sgpr_count 6
		.amdhsa_user_sgpr_private_segment_buffer 1
		.amdhsa_user_sgpr_dispatch_ptr 0
		.amdhsa_user_sgpr_queue_ptr 0
		.amdhsa_user_sgpr_kernarg_segment_ptr 1
		.amdhsa_user_sgpr_dispatch_id 0
		.amdhsa_user_sgpr_flat_scratch_init 0
		.amdhsa_user_sgpr_private_segment_size 0
		.amdhsa_uses_dynamic_stack 0
		.amdhsa_system_sgpr_private_segment_wavefront_offset 0
		.amdhsa_system_sgpr_workgroup_id_x 1
		.amdhsa_system_sgpr_workgroup_id_y 1
		.amdhsa_system_sgpr_workgroup_id_z 0
		.amdhsa_system_sgpr_workgroup_info 0
		.amdhsa_system_vgpr_workitem_id 0
		.amdhsa_next_free_vgpr 129
		.amdhsa_next_free_sgpr 98
		.amdhsa_reserve_vcc 1
		.amdhsa_reserve_flat_scratch 0
		.amdhsa_float_round_mode_32 0
		.amdhsa_float_round_mode_16_64 0
		.amdhsa_float_denorm_mode_32 3
		.amdhsa_float_denorm_mode_16_64 3
		.amdhsa_dx10_clamp 1
		.amdhsa_ieee_mode 1
		.amdhsa_fp16_overflow 0
		.amdhsa_exception_fp_ieee_invalid_op 0
		.amdhsa_exception_fp_denorm_src 0
		.amdhsa_exception_fp_ieee_div_zero 0
		.amdhsa_exception_fp_ieee_overflow 0
		.amdhsa_exception_fp_ieee_underflow 0
		.amdhsa_exception_fp_ieee_inexact 0
		.amdhsa_exception_int_div_zero 0
	.end_amdhsa_kernel
	.section	.text._ZN9rocsolver6v33100L22larf_left_kernel_smallILi256E19rocblas_complex_numIdEiPKPS3_EEvT1_S7_T2_lS7_lPKT0_lS8_lS7_l,"axG",@progbits,_ZN9rocsolver6v33100L22larf_left_kernel_smallILi256E19rocblas_complex_numIdEiPKPS3_EEvT1_S7_T2_lS7_lPKT0_lS8_lS7_l,comdat
.Lfunc_end12:
	.size	_ZN9rocsolver6v33100L22larf_left_kernel_smallILi256E19rocblas_complex_numIdEiPKPS3_EEvT1_S7_T2_lS7_lPKT0_lS8_lS7_l, .Lfunc_end12-_ZN9rocsolver6v33100L22larf_left_kernel_smallILi256E19rocblas_complex_numIdEiPKPS3_EEvT1_S7_T2_lS7_lPKT0_lS8_lS7_l
                                        ; -- End function
	.set _ZN9rocsolver6v33100L22larf_left_kernel_smallILi256E19rocblas_complex_numIdEiPKPS3_EEvT1_S7_T2_lS7_lPKT0_lS8_lS7_l.num_vgpr, 29
	.set _ZN9rocsolver6v33100L22larf_left_kernel_smallILi256E19rocblas_complex_numIdEiPKPS3_EEvT1_S7_T2_lS7_lPKT0_lS8_lS7_l.num_agpr, 0
	.set _ZN9rocsolver6v33100L22larf_left_kernel_smallILi256E19rocblas_complex_numIdEiPKPS3_EEvT1_S7_T2_lS7_lPKT0_lS8_lS7_l.numbered_sgpr, 29
	.set _ZN9rocsolver6v33100L22larf_left_kernel_smallILi256E19rocblas_complex_numIdEiPKPS3_EEvT1_S7_T2_lS7_lPKT0_lS8_lS7_l.num_named_barrier, 0
	.set _ZN9rocsolver6v33100L22larf_left_kernel_smallILi256E19rocblas_complex_numIdEiPKPS3_EEvT1_S7_T2_lS7_lPKT0_lS8_lS7_l.private_seg_size, 0
	.set _ZN9rocsolver6v33100L22larf_left_kernel_smallILi256E19rocblas_complex_numIdEiPKPS3_EEvT1_S7_T2_lS7_lPKT0_lS8_lS7_l.uses_vcc, 1
	.set _ZN9rocsolver6v33100L22larf_left_kernel_smallILi256E19rocblas_complex_numIdEiPKPS3_EEvT1_S7_T2_lS7_lPKT0_lS8_lS7_l.uses_flat_scratch, 0
	.set _ZN9rocsolver6v33100L22larf_left_kernel_smallILi256E19rocblas_complex_numIdEiPKPS3_EEvT1_S7_T2_lS7_lPKT0_lS8_lS7_l.has_dyn_sized_stack, 0
	.set _ZN9rocsolver6v33100L22larf_left_kernel_smallILi256E19rocblas_complex_numIdEiPKPS3_EEvT1_S7_T2_lS7_lPKT0_lS8_lS7_l.has_recursion, 0
	.set _ZN9rocsolver6v33100L22larf_left_kernel_smallILi256E19rocblas_complex_numIdEiPKPS3_EEvT1_S7_T2_lS7_lPKT0_lS8_lS7_l.has_indirect_call, 0
	.section	.AMDGPU.csdata,"",@progbits
; Kernel info:
; codeLenInByte = 1508
; TotalNumSgprs: 33
; NumVgprs: 29
; ScratchSize: 0
; MemoryBound: 0
; FloatMode: 240
; IeeeMode: 1
; LDSByteSize: 36864 bytes/workgroup (compile time only)
; SGPRBlocks: 12
; VGPRBlocks: 32
; NumSGPRsForWavesPerEU: 102
; NumVGPRsForWavesPerEU: 129
; Occupancy: 1
; WaveLimiterHint : 0
; COMPUTE_PGM_RSRC2:SCRATCH_EN: 0
; COMPUTE_PGM_RSRC2:USER_SGPR: 6
; COMPUTE_PGM_RSRC2:TRAP_HANDLER: 0
; COMPUTE_PGM_RSRC2:TGID_X_EN: 1
; COMPUTE_PGM_RSRC2:TGID_Y_EN: 1
; COMPUTE_PGM_RSRC2:TGID_Z_EN: 0
; COMPUTE_PGM_RSRC2:TIDIG_COMP_CNT: 0
	.section	.text._ZN9rocsolver6v33100L22larf_left_kernel_smallILi512E19rocblas_complex_numIdEiPKPS3_EEvT1_S7_T2_lS7_lPKT0_lS8_lS7_l,"axG",@progbits,_ZN9rocsolver6v33100L22larf_left_kernel_smallILi512E19rocblas_complex_numIdEiPKPS3_EEvT1_S7_T2_lS7_lPKT0_lS8_lS7_l,comdat
	.globl	_ZN9rocsolver6v33100L22larf_left_kernel_smallILi512E19rocblas_complex_numIdEiPKPS3_EEvT1_S7_T2_lS7_lPKT0_lS8_lS7_l ; -- Begin function _ZN9rocsolver6v33100L22larf_left_kernel_smallILi512E19rocblas_complex_numIdEiPKPS3_EEvT1_S7_T2_lS7_lPKT0_lS8_lS7_l
	.p2align	8
	.type	_ZN9rocsolver6v33100L22larf_left_kernel_smallILi512E19rocblas_complex_numIdEiPKPS3_EEvT1_S7_T2_lS7_lPKT0_lS8_lS7_l,@function
_ZN9rocsolver6v33100L22larf_left_kernel_smallILi512E19rocblas_complex_numIdEiPKPS3_EEvT1_S7_T2_lS7_lPKT0_lS8_lS7_l: ; @_ZN9rocsolver6v33100L22larf_left_kernel_smallILi512E19rocblas_complex_numIdEiPKPS3_EEvT1_S7_T2_lS7_lPKT0_lS8_lS7_l
; %bb.0:
	s_load_dwordx8 s[12:19], s[4:5], 0x28
	s_load_dwordx2 s[10:11], s[4:5], 0x0
	s_mov_b32 s8, s7
	s_ashr_i32 s7, s6, 31
	s_lshl_b64 s[20:21], s[6:7], 3
	s_waitcnt lgkmcnt(0)
	s_add_u32 s0, s16, s20
	s_addc_u32 s1, s17, s21
	s_load_dwordx2 s[16:17], s[0:1], 0x0
	v_cmp_gt_i32_e64 s[0:1], s10, v0
	v_lshlrev_b32_e32 v15, 4, v0
	s_and_saveexec_b64 s[2:3], s[0:1]
	s_cbranch_execz .LBB13_3
; %bb.1:
	s_load_dwordx4 s[24:27], s[4:5], 0x8
	s_load_dword s28, s[4:5], 0x18
	v_lshlrev_b32_e32 v3, 4, v0
	v_mov_b32_e32 v5, v0
	s_waitcnt lgkmcnt(0)
	s_add_u32 s20, s24, s20
	s_addc_u32 s21, s25, s21
	s_load_dwordx2 s[22:23], s[20:21], 0x0
	s_lshl_b64 s[24:25], s[26:27], 4
	v_mul_lo_u32 v1, v0, s28
	s_mov_b64 s[20:21], 0
	s_waitcnt lgkmcnt(0)
	s_add_u32 s9, s22, s24
	s_addc_u32 s23, s23, s25
	s_sub_i32 s22, 1, s10
	s_mul_i32 s22, s28, s22
	s_cmp_lt_i32 s28, 1
	s_cselect_b32 s24, s22, 0
	s_lshl_b32 s22, s28, 9
	v_add_u32_e32 v1, s24, v1
	v_mov_b32_e32 v4, s23
.LBB13_2:                               ; =>This Inner Loop Header: Depth=1
	v_ashrrev_i32_e32 v2, 31, v1
	v_lshlrev_b64 v[6:7], 4, v[1:2]
	v_add_u32_e32 v5, 0x200, v5
	v_add_co_u32_e32 v6, vcc, s9, v6
	v_addc_co_u32_e32 v7, vcc, v4, v7, vcc
	flat_load_dwordx4 v[6:9], v[6:7]
	v_cmp_le_i32_e32 vcc, s10, v5
	v_add_u32_e32 v1, s22, v1
	s_or_b64 s[20:21], vcc, s[20:21]
	s_waitcnt vmcnt(0) lgkmcnt(0)
	ds_write2_b64 v3, v[6:7], v[8:9] offset1:1
	v_add_u32_e32 v3, 0x2000, v3
	s_andn2_b64 exec, exec, s[20:21]
	s_cbranch_execnz .LBB13_2
.LBB13_3:
	s_or_b64 exec, exec, s[2:3]
	s_cmp_ge_i32 s8, s11
	s_waitcnt lgkmcnt(0)
	s_barrier
	s_cbranch_scc1 .LBB13_23
; %bb.4:
	s_mul_i32 s2, s14, s7
	s_mul_hi_u32 s3, s14, s6
	s_add_i32 s2, s3, s2
	s_mul_i32 s3, s15, s6
	s_add_i32 s3, s2, s3
	s_mul_i32 s2, s14, s6
	s_lshl_b64 s[2:3], s[2:3], 4
	s_add_u32 s12, s12, s2
	s_addc_u32 s13, s13, s3
	s_load_dword s9, s[4:5], 0x48
	s_cmp_gt_i32 s10, 1
	s_cselect_b64 s[14:15], -1, 0
	v_and_b32_e32 v1, 63, v0
	s_lshl_b64 s[6:7], s[18:19], 4
	v_cmp_eq_u32_e64 s[2:3], 0, v1
	v_lshrrev_b32_e32 v1, 2, v0
	s_add_u32 s6, s16, s6
	s_addc_u32 s7, s17, s7
	v_or_b32_e32 v19, 0x8000, v1
	v_mbcnt_lo_u32_b32 v1, -1, 0
	v_mov_b32_e32 v2, s7
	v_add_co_u32_e32 v17, vcc, s6, v15
	v_mbcnt_hi_u32_b32 v20, -1, v1
	v_mov_b32_e32 v1, 0x80
	v_cmp_eq_u32_e64 s[4:5], 0, v0
	v_mov_b32_e32 v16, 0
	v_addc_co_u32_e32 v18, vcc, 0, v2, vcc
	s_waitcnt lgkmcnt(0)
	s_mul_i32 s16, s8, s9
	s_lshl_b32 s9, s9, 6
	v_and_b32_e32 v21, 63, v20
	v_lshl_or_b32 v22, v20, 2, v1
	s_branch .LBB13_6
.LBB13_5:                               ;   in Loop: Header=BB13_6 Depth=1
	s_or_b64 exec, exec, s[6:7]
	s_add_i32 s8, s8, 64
	s_add_i32 s16, s16, s9
	s_cmp_ge_i32 s8, s11
	s_cbranch_scc1 .LBB13_23
.LBB13_6:                               ; =>This Loop Header: Depth=1
                                        ;     Child Loop BB13_8 Depth 2
                                        ;     Child Loop BB13_22 Depth 2
	s_ashr_i32 s17, s16, 31
	s_lshl_b64 s[6:7], s[16:17], 4
	v_mov_b32_e32 v6, s7
	v_mov_b32_e32 v3, 0
	;; [unrolled: 1-line block ×3, first 2 shown]
	v_add_co_u32_e32 v5, vcc, s6, v17
	v_mov_b32_e32 v4, 0
	v_mov_b32_e32 v2, 0
	v_addc_co_u32_e32 v6, vcc, v18, v6, vcc
	s_and_saveexec_b64 s[18:19], s[0:1]
	s_cbranch_execz .LBB13_10
; %bb.7:                                ;   in Loop: Header=BB13_6 Depth=1
	v_mov_b32_e32 v3, 0
	v_mov_b32_e32 v8, v6
	;; [unrolled: 1-line block ×4, first 2 shown]
	s_mov_b64 s[20:21], 0
	v_mov_b32_e32 v7, v5
	v_mov_b32_e32 v9, v15
	;; [unrolled: 1-line block ×4, first 2 shown]
.LBB13_8:                               ;   Parent Loop BB13_6 Depth=1
                                        ; =>  This Inner Loop Header: Depth=2
	flat_load_dwordx4 v[11:14], v[7:8]
	ds_read_b128 v[23:26], v9
	v_add_u32_e32 v10, 0x200, v10
	v_add_co_u32_e32 v7, vcc, 0x2000, v7
	v_cmp_le_i32_e64 s[6:7], s10, v10
	v_add_u32_e32 v9, 0x2000, v9
	s_or_b64 s[20:21], s[6:7], s[20:21]
	v_addc_co_u32_e32 v8, vcc, 0, v8, vcc
	s_waitcnt vmcnt(0) lgkmcnt(0)
	v_mul_f64 v[27:28], v[13:14], v[25:26]
	v_mul_f64 v[13:14], v[13:14], v[23:24]
	v_fma_f64 v[23:24], v[11:12], v[23:24], v[27:28]
	v_fma_f64 v[11:12], v[11:12], v[25:26], -v[13:14]
	v_add_f64 v[1:2], v[1:2], v[23:24]
	v_add_f64 v[3:4], v[3:4], v[11:12]
	s_andn2_b64 exec, exec, s[20:21]
	s_cbranch_execnz .LBB13_8
; %bb.9:                                ;   in Loop: Header=BB13_6 Depth=1
	s_or_b64 exec, exec, s[20:21]
.LBB13_10:                              ;   in Loop: Header=BB13_6 Depth=1
	s_or_b64 exec, exec, s[18:19]
	s_and_b64 vcc, exec, s[14:15]
	s_cbranch_vccz .LBB13_17
; %bb.11:                               ;   in Loop: Header=BB13_6 Depth=1
	v_cmp_ne_u32_e32 vcc, 63, v21
	v_addc_co_u32_e32 v7, vcc, 0, v20, vcc
	v_lshlrev_b32_e32 v10, 2, v7
	ds_bpermute_b32 v7, v10, v1
	ds_bpermute_b32 v8, v10, v2
	;; [unrolled: 1-line block ×4, first 2 shown]
	v_cmp_gt_u32_e32 vcc, 62, v21
	v_cndmask_b32_e64 v11, 0, 2, vcc
	s_waitcnt lgkmcnt(0)
	v_add_f64 v[7:8], v[1:2], v[7:8]
	v_add_lshl_u32 v14, v11, v20, 2
	s_waitcnt lgkmcnt(0)
	v_add_f64 v[9:10], v[3:4], v[9:10]
	v_cmp_gt_u32_e32 vcc, 60, v21
	ds_bpermute_b32 v11, v14, v7
	ds_bpermute_b32 v12, v14, v8
	ds_bpermute_b32 v13, v14, v9
	ds_bpermute_b32 v14, v14, v10
	s_waitcnt lgkmcnt(0)
	v_add_f64 v[7:8], v[7:8], v[11:12]
	v_cndmask_b32_e64 v11, 0, 4, vcc
	s_waitcnt lgkmcnt(0)
	v_add_f64 v[9:10], v[9:10], v[13:14]
	v_add_lshl_u32 v14, v11, v20, 2
	v_cmp_gt_u32_e32 vcc, 56, v21
	ds_bpermute_b32 v11, v14, v7
	ds_bpermute_b32 v12, v14, v8
	ds_bpermute_b32 v13, v14, v9
	ds_bpermute_b32 v14, v14, v10
	s_waitcnt lgkmcnt(0)
	v_add_f64 v[7:8], v[7:8], v[11:12]
	v_cndmask_b32_e64 v11, 0, 8, vcc
	s_waitcnt lgkmcnt(0)
	v_add_f64 v[9:10], v[9:10], v[13:14]
	v_add_lshl_u32 v14, v11, v20, 2
	;; [unrolled: 11-line block ×3, first 2 shown]
	ds_bpermute_b32 v11, v14, v7
	ds_bpermute_b32 v12, v14, v8
	ds_bpermute_b32 v13, v14, v9
	ds_bpermute_b32 v14, v14, v10
	s_waitcnt lgkmcnt(0)
	v_add_f64 v[7:8], v[7:8], v[11:12]
	s_waitcnt lgkmcnt(0)
	v_add_f64 v[9:10], v[9:10], v[13:14]
	ds_bpermute_b32 v11, v22, v7
	ds_bpermute_b32 v12, v22, v8
	;; [unrolled: 1-line block ×4, first 2 shown]
	s_waitcnt lgkmcnt(0)
	v_add_f64 v[7:8], v[7:8], v[11:12]
	s_waitcnt lgkmcnt(0)
	v_add_f64 v[9:10], v[9:10], v[13:14]
	s_and_saveexec_b64 s[6:7], s[2:3]
; %bb.12:                               ;   in Loop: Header=BB13_6 Depth=1
	ds_write2_b64 v19, v[7:8], v[9:10] offset1:1
; %bb.13:                               ;   in Loop: Header=BB13_6 Depth=1
	s_or_b64 exec, exec, s[6:7]
	s_mov_b64 s[18:19], 0
	s_mov_b64 s[6:7], 0
	s_waitcnt vmcnt(0) lgkmcnt(0)
	s_barrier
                                        ; implicit-def: $vgpr11_vgpr12
                                        ; implicit-def: $vgpr13_vgpr14
	s_and_saveexec_b64 s[20:21], s[4:5]
	s_xor_b64 s[20:21], exec, s[20:21]
	s_cbranch_execz .LBB13_15
; %bb.14:                               ;   in Loop: Header=BB13_6 Depth=1
	ds_read_b128 v[11:14], v16 offset:32784
	ds_read_b128 v[23:26], v16 offset:32800
	s_mov_b64 s[6:7], exec
	s_waitcnt lgkmcnt(1)
	v_add_f64 v[7:8], v[7:8], v[11:12]
	v_add_f64 v[9:10], v[9:10], v[13:14]
	s_waitcnt lgkmcnt(0)
	v_add_f64 v[23:24], v[7:8], v[23:24]
	v_add_f64 v[25:26], v[9:10], v[25:26]
	ds_read_b128 v[7:10], v16 offset:32816
	ds_read_b128 v[11:14], v16 offset:32832
	s_waitcnt lgkmcnt(1)
	v_add_f64 v[7:8], v[23:24], v[7:8]
	v_add_f64 v[9:10], v[25:26], v[9:10]
	s_waitcnt lgkmcnt(0)
	v_add_f64 v[23:24], v[7:8], v[11:12]
	v_add_f64 v[25:26], v[9:10], v[13:14]
	ds_read_b128 v[7:10], v16 offset:32848
	ds_read_b128 v[11:14], v16 offset:32864
	s_waitcnt lgkmcnt(1)
	v_add_f64 v[7:8], v[23:24], v[7:8]
	v_add_f64 v[9:10], v[25:26], v[9:10]
	s_waitcnt lgkmcnt(0)
	v_add_f64 v[11:12], v[7:8], v[11:12]
	v_add_f64 v[23:24], v[9:10], v[13:14]
	ds_read_b128 v[7:10], v16 offset:32880
	s_waitcnt lgkmcnt(0)
	v_add_f64 v[13:14], v[11:12], v[7:8]
	v_add_f64 v[11:12], v[23:24], v[9:10]
.LBB13_15:                              ;   in Loop: Header=BB13_6 Depth=1
	s_or_b64 exec, exec, s[20:21]
	s_and_b64 vcc, exec, s[18:19]
	s_cbranch_vccnz .LBB13_18
.LBB13_16:                              ;   in Loop: Header=BB13_6 Depth=1
	v_mov_b32_e32 v3, v11
	v_mov_b32_e32 v1, v13
	;; [unrolled: 1-line block ×4, first 2 shown]
	s_and_saveexec_b64 s[18:19], s[6:7]
	s_cbranch_execnz .LBB13_19
	s_branch .LBB13_20
.LBB13_17:                              ;   in Loop: Header=BB13_6 Depth=1
	s_mov_b64 s[6:7], 0
                                        ; implicit-def: $vgpr11_vgpr12
                                        ; implicit-def: $vgpr13_vgpr14
	s_cbranch_execz .LBB13_16
.LBB13_18:                              ;   in Loop: Header=BB13_6 Depth=1
	s_andn2_b64 s[6:7], s[6:7], exec
	s_and_b64 s[18:19], s[4:5], exec
	s_or_b64 s[6:7], s[6:7], s[18:19]
	s_and_saveexec_b64 s[18:19], s[6:7]
.LBB13_19:                              ;   in Loop: Header=BB13_6 Depth=1
	ds_write_b128 v16, v[1:4] offset:32768
.LBB13_20:                              ;   in Loop: Header=BB13_6 Depth=1
	s_or_b64 exec, exec, s[18:19]
	s_waitcnt vmcnt(0) lgkmcnt(0)
	s_barrier
	s_and_saveexec_b64 s[6:7], s[0:1]
	s_cbranch_execz .LBB13_5
; %bb.21:                               ;   in Loop: Header=BB13_6 Depth=1
	global_load_dwordx4 v[7:10], v16, s[12:13]
	ds_read_b128 v[1:4], v16 offset:32768
	s_mov_b64 s[18:19], 0
	s_waitcnt vmcnt(0) lgkmcnt(0)
	v_mul_f64 v[11:12], v[9:10], v[3:4]
	v_mul_f64 v[9:10], v[9:10], v[1:2]
	v_fma_f64 v[1:2], v[1:2], -v[7:8], -v[11:12]
	v_fma_f64 v[3:4], v[7:8], v[3:4], -v[9:10]
	v_mov_b32_e32 v7, v15
	v_mov_b32_e32 v8, v0
.LBB13_22:                              ;   Parent Loop BB13_6 Depth=1
                                        ; =>  This Inner Loop Header: Depth=2
	flat_load_dwordx4 v[9:12], v[5:6]
	ds_read_b128 v[23:26], v7
	v_add_u32_e32 v8, 0x200, v8
	v_cmp_le_i32_e32 vcc, s10, v8
	s_or_b64 s[18:19], vcc, s[18:19]
	v_add_u32_e32 v7, 0x2000, v7
	s_waitcnt lgkmcnt(0)
	v_mul_f64 v[13:14], v[3:4], v[25:26]
	v_mul_f64 v[25:26], v[1:2], v[25:26]
	v_fma_f64 v[13:14], v[1:2], v[23:24], -v[13:14]
	v_fma_f64 v[23:24], v[3:4], v[23:24], v[25:26]
	s_waitcnt vmcnt(0)
	v_add_f64 v[9:10], v[9:10], v[13:14]
	v_add_f64 v[11:12], v[23:24], v[11:12]
	flat_store_dwordx4 v[5:6], v[9:12]
	v_add_co_u32_e32 v5, vcc, 0x2000, v5
	v_addc_co_u32_e32 v6, vcc, 0, v6, vcc
	s_andn2_b64 exec, exec, s[18:19]
	s_cbranch_execnz .LBB13_22
	s_branch .LBB13_5
.LBB13_23:
	s_endpgm
	.section	.rodata,"a",@progbits
	.p2align	6, 0x0
	.amdhsa_kernel _ZN9rocsolver6v33100L22larf_left_kernel_smallILi512E19rocblas_complex_numIdEiPKPS3_EEvT1_S7_T2_lS7_lPKT0_lS8_lS7_l
		.amdhsa_group_segment_fixed_size 40960
		.amdhsa_private_segment_fixed_size 0
		.amdhsa_kernarg_size 88
		.amdhsa_user_sgpr_count 6
		.amdhsa_user_sgpr_private_segment_buffer 1
		.amdhsa_user_sgpr_dispatch_ptr 0
		.amdhsa_user_sgpr_queue_ptr 0
		.amdhsa_user_sgpr_kernarg_segment_ptr 1
		.amdhsa_user_sgpr_dispatch_id 0
		.amdhsa_user_sgpr_flat_scratch_init 0
		.amdhsa_user_sgpr_private_segment_size 0
		.amdhsa_uses_dynamic_stack 0
		.amdhsa_system_sgpr_private_segment_wavefront_offset 0
		.amdhsa_system_sgpr_workgroup_id_x 1
		.amdhsa_system_sgpr_workgroup_id_y 1
		.amdhsa_system_sgpr_workgroup_id_z 0
		.amdhsa_system_sgpr_workgroup_info 0
		.amdhsa_system_vgpr_workitem_id 0
		.amdhsa_next_free_vgpr 85
		.amdhsa_next_free_sgpr 98
		.amdhsa_reserve_vcc 1
		.amdhsa_reserve_flat_scratch 0
		.amdhsa_float_round_mode_32 0
		.amdhsa_float_round_mode_16_64 0
		.amdhsa_float_denorm_mode_32 3
		.amdhsa_float_denorm_mode_16_64 3
		.amdhsa_dx10_clamp 1
		.amdhsa_ieee_mode 1
		.amdhsa_fp16_overflow 0
		.amdhsa_exception_fp_ieee_invalid_op 0
		.amdhsa_exception_fp_denorm_src 0
		.amdhsa_exception_fp_ieee_div_zero 0
		.amdhsa_exception_fp_ieee_overflow 0
		.amdhsa_exception_fp_ieee_underflow 0
		.amdhsa_exception_fp_ieee_inexact 0
		.amdhsa_exception_int_div_zero 0
	.end_amdhsa_kernel
	.section	.text._ZN9rocsolver6v33100L22larf_left_kernel_smallILi512E19rocblas_complex_numIdEiPKPS3_EEvT1_S7_T2_lS7_lPKT0_lS8_lS7_l,"axG",@progbits,_ZN9rocsolver6v33100L22larf_left_kernel_smallILi512E19rocblas_complex_numIdEiPKPS3_EEvT1_S7_T2_lS7_lPKT0_lS8_lS7_l,comdat
.Lfunc_end13:
	.size	_ZN9rocsolver6v33100L22larf_left_kernel_smallILi512E19rocblas_complex_numIdEiPKPS3_EEvT1_S7_T2_lS7_lPKT0_lS8_lS7_l, .Lfunc_end13-_ZN9rocsolver6v33100L22larf_left_kernel_smallILi512E19rocblas_complex_numIdEiPKPS3_EEvT1_S7_T2_lS7_lPKT0_lS8_lS7_l
                                        ; -- End function
	.set _ZN9rocsolver6v33100L22larf_left_kernel_smallILi512E19rocblas_complex_numIdEiPKPS3_EEvT1_S7_T2_lS7_lPKT0_lS8_lS7_l.num_vgpr, 29
	.set _ZN9rocsolver6v33100L22larf_left_kernel_smallILi512E19rocblas_complex_numIdEiPKPS3_EEvT1_S7_T2_lS7_lPKT0_lS8_lS7_l.num_agpr, 0
	.set _ZN9rocsolver6v33100L22larf_left_kernel_smallILi512E19rocblas_complex_numIdEiPKPS3_EEvT1_S7_T2_lS7_lPKT0_lS8_lS7_l.numbered_sgpr, 29
	.set _ZN9rocsolver6v33100L22larf_left_kernel_smallILi512E19rocblas_complex_numIdEiPKPS3_EEvT1_S7_T2_lS7_lPKT0_lS8_lS7_l.num_named_barrier, 0
	.set _ZN9rocsolver6v33100L22larf_left_kernel_smallILi512E19rocblas_complex_numIdEiPKPS3_EEvT1_S7_T2_lS7_lPKT0_lS8_lS7_l.private_seg_size, 0
	.set _ZN9rocsolver6v33100L22larf_left_kernel_smallILi512E19rocblas_complex_numIdEiPKPS3_EEvT1_S7_T2_lS7_lPKT0_lS8_lS7_l.uses_vcc, 1
	.set _ZN9rocsolver6v33100L22larf_left_kernel_smallILi512E19rocblas_complex_numIdEiPKPS3_EEvT1_S7_T2_lS7_lPKT0_lS8_lS7_l.uses_flat_scratch, 0
	.set _ZN9rocsolver6v33100L22larf_left_kernel_smallILi512E19rocblas_complex_numIdEiPKPS3_EEvT1_S7_T2_lS7_lPKT0_lS8_lS7_l.has_dyn_sized_stack, 0
	.set _ZN9rocsolver6v33100L22larf_left_kernel_smallILi512E19rocblas_complex_numIdEiPKPS3_EEvT1_S7_T2_lS7_lPKT0_lS8_lS7_l.has_recursion, 0
	.set _ZN9rocsolver6v33100L22larf_left_kernel_smallILi512E19rocblas_complex_numIdEiPKPS3_EEvT1_S7_T2_lS7_lPKT0_lS8_lS7_l.has_indirect_call, 0
	.section	.AMDGPU.csdata,"",@progbits
; Kernel info:
; codeLenInByte = 1620
; TotalNumSgprs: 33
; NumVgprs: 29
; ScratchSize: 0
; MemoryBound: 0
; FloatMode: 240
; IeeeMode: 1
; LDSByteSize: 40960 bytes/workgroup (compile time only)
; SGPRBlocks: 12
; VGPRBlocks: 21
; NumSGPRsForWavesPerEU: 102
; NumVGPRsForWavesPerEU: 85
; Occupancy: 2
; WaveLimiterHint : 0
; COMPUTE_PGM_RSRC2:SCRATCH_EN: 0
; COMPUTE_PGM_RSRC2:USER_SGPR: 6
; COMPUTE_PGM_RSRC2:TRAP_HANDLER: 0
; COMPUTE_PGM_RSRC2:TGID_X_EN: 1
; COMPUTE_PGM_RSRC2:TGID_Y_EN: 1
; COMPUTE_PGM_RSRC2:TGID_Z_EN: 0
; COMPUTE_PGM_RSRC2:TIDIG_COMP_CNT: 0
	.section	.text._ZN9rocsolver6v33100L22larf_left_kernel_smallILi1024E19rocblas_complex_numIdEiPKPS3_EEvT1_S7_T2_lS7_lPKT0_lS8_lS7_l,"axG",@progbits,_ZN9rocsolver6v33100L22larf_left_kernel_smallILi1024E19rocblas_complex_numIdEiPKPS3_EEvT1_S7_T2_lS7_lPKT0_lS8_lS7_l,comdat
	.globl	_ZN9rocsolver6v33100L22larf_left_kernel_smallILi1024E19rocblas_complex_numIdEiPKPS3_EEvT1_S7_T2_lS7_lPKT0_lS8_lS7_l ; -- Begin function _ZN9rocsolver6v33100L22larf_left_kernel_smallILi1024E19rocblas_complex_numIdEiPKPS3_EEvT1_S7_T2_lS7_lPKT0_lS8_lS7_l
	.p2align	8
	.type	_ZN9rocsolver6v33100L22larf_left_kernel_smallILi1024E19rocblas_complex_numIdEiPKPS3_EEvT1_S7_T2_lS7_lPKT0_lS8_lS7_l,@function
_ZN9rocsolver6v33100L22larf_left_kernel_smallILi1024E19rocblas_complex_numIdEiPKPS3_EEvT1_S7_T2_lS7_lPKT0_lS8_lS7_l: ; @_ZN9rocsolver6v33100L22larf_left_kernel_smallILi1024E19rocblas_complex_numIdEiPKPS3_EEvT1_S7_T2_lS7_lPKT0_lS8_lS7_l
; %bb.0:
	s_load_dwordx8 s[12:19], s[4:5], 0x28
	s_load_dwordx2 s[10:11], s[4:5], 0x0
	s_mov_b32 s8, s7
	s_ashr_i32 s7, s6, 31
	s_lshl_b64 s[20:21], s[6:7], 3
	s_waitcnt lgkmcnt(0)
	s_add_u32 s0, s16, s20
	s_addc_u32 s1, s17, s21
	s_load_dwordx2 s[16:17], s[0:1], 0x0
	v_cmp_gt_i32_e64 s[0:1], s10, v0
	v_lshlrev_b32_e32 v15, 4, v0
	s_and_saveexec_b64 s[2:3], s[0:1]
	s_cbranch_execz .LBB14_3
; %bb.1:
	s_load_dwordx4 s[24:27], s[4:5], 0x8
	s_load_dword s28, s[4:5], 0x18
	v_lshlrev_b32_e32 v3, 4, v0
	v_mov_b32_e32 v5, v0
	s_waitcnt lgkmcnt(0)
	s_add_u32 s20, s24, s20
	s_addc_u32 s21, s25, s21
	s_load_dwordx2 s[22:23], s[20:21], 0x0
	s_lshl_b64 s[24:25], s[26:27], 4
	v_mul_lo_u32 v1, v0, s28
	s_mov_b64 s[20:21], 0
	s_waitcnt lgkmcnt(0)
	s_add_u32 s9, s22, s24
	s_addc_u32 s23, s23, s25
	s_sub_i32 s22, 1, s10
	s_mul_i32 s22, s28, s22
	s_cmp_lt_i32 s28, 1
	s_cselect_b32 s24, s22, 0
	s_lshl_b32 s22, s28, 10
	v_add_u32_e32 v1, s24, v1
	v_mov_b32_e32 v4, s23
.LBB14_2:                               ; =>This Inner Loop Header: Depth=1
	v_ashrrev_i32_e32 v2, 31, v1
	v_lshlrev_b64 v[6:7], 4, v[1:2]
	v_add_u32_e32 v5, 0x400, v5
	v_add_co_u32_e32 v6, vcc, s9, v6
	v_addc_co_u32_e32 v7, vcc, v4, v7, vcc
	flat_load_dwordx4 v[6:9], v[6:7]
	v_cmp_le_i32_e32 vcc, s10, v5
	v_add_u32_e32 v1, s22, v1
	s_or_b64 s[20:21], vcc, s[20:21]
	s_waitcnt vmcnt(0) lgkmcnt(0)
	ds_write2_b64 v3, v[6:7], v[8:9] offset1:1
	v_add_u32_e32 v3, 0x4000, v3
	s_andn2_b64 exec, exec, s[20:21]
	s_cbranch_execnz .LBB14_2
.LBB14_3:
	s_or_b64 exec, exec, s[2:3]
	s_cmp_ge_i32 s8, s11
	s_waitcnt lgkmcnt(0)
	s_barrier
	s_cbranch_scc1 .LBB14_23
; %bb.4:
	s_mul_i32 s2, s14, s7
	s_mul_hi_u32 s3, s14, s6
	s_add_i32 s2, s3, s2
	s_mul_i32 s3, s15, s6
	s_add_i32 s3, s2, s3
	s_mul_i32 s2, s14, s6
	s_lshl_b64 s[2:3], s[2:3], 4
	s_add_u32 s12, s12, s2
	s_addc_u32 s13, s13, s3
	s_load_dword s9, s[4:5], 0x48
	s_cmp_gt_i32 s10, 1
	s_cselect_b64 s[14:15], -1, 0
	v_and_b32_e32 v1, 63, v0
	s_lshl_b64 s[6:7], s[18:19], 4
	v_cmp_eq_u32_e64 s[2:3], 0, v1
	v_lshrrev_b32_e32 v1, 2, v0
	s_add_u32 s6, s16, s6
	s_addc_u32 s7, s17, s7
	v_or_b32_e32 v19, 0x8000, v1
	v_mbcnt_lo_u32_b32 v1, -1, 0
	v_mov_b32_e32 v2, s7
	v_add_co_u32_e32 v17, vcc, s6, v15
	v_mbcnt_hi_u32_b32 v20, -1, v1
	v_mov_b32_e32 v1, 0x80
	v_cmp_eq_u32_e64 s[4:5], 0, v0
	v_mov_b32_e32 v16, 0
	v_addc_co_u32_e32 v18, vcc, 0, v2, vcc
	s_waitcnt lgkmcnt(0)
	s_mul_i32 s16, s8, s9
	s_lshl_b32 s9, s9, 6
	v_and_b32_e32 v21, 63, v20
	v_lshl_or_b32 v22, v20, 2, v1
	s_branch .LBB14_6
.LBB14_5:                               ;   in Loop: Header=BB14_6 Depth=1
	s_or_b64 exec, exec, s[6:7]
	s_add_i32 s8, s8, 64
	s_add_i32 s16, s16, s9
	s_cmp_ge_i32 s8, s11
	s_cbranch_scc1 .LBB14_23
.LBB14_6:                               ; =>This Loop Header: Depth=1
                                        ;     Child Loop BB14_8 Depth 2
                                        ;     Child Loop BB14_22 Depth 2
	s_ashr_i32 s17, s16, 31
	s_lshl_b64 s[6:7], s[16:17], 4
	v_mov_b32_e32 v6, s7
	v_mov_b32_e32 v3, 0
	;; [unrolled: 1-line block ×3, first 2 shown]
	v_add_co_u32_e32 v5, vcc, s6, v17
	v_mov_b32_e32 v4, 0
	v_mov_b32_e32 v2, 0
	v_addc_co_u32_e32 v6, vcc, v18, v6, vcc
	s_and_saveexec_b64 s[18:19], s[0:1]
	s_cbranch_execz .LBB14_10
; %bb.7:                                ;   in Loop: Header=BB14_6 Depth=1
	v_mov_b32_e32 v3, 0
	v_mov_b32_e32 v8, v6
	;; [unrolled: 1-line block ×4, first 2 shown]
	s_mov_b64 s[20:21], 0
	v_mov_b32_e32 v7, v5
	v_mov_b32_e32 v9, v15
	;; [unrolled: 1-line block ×4, first 2 shown]
.LBB14_8:                               ;   Parent Loop BB14_6 Depth=1
                                        ; =>  This Inner Loop Header: Depth=2
	flat_load_dwordx4 v[11:14], v[7:8]
	ds_read_b128 v[23:26], v9
	v_add_u32_e32 v10, 0x400, v10
	v_add_co_u32_e32 v7, vcc, 0x4000, v7
	v_cmp_le_i32_e64 s[6:7], s10, v10
	v_add_u32_e32 v9, 0x4000, v9
	s_or_b64 s[20:21], s[6:7], s[20:21]
	v_addc_co_u32_e32 v8, vcc, 0, v8, vcc
	s_waitcnt vmcnt(0) lgkmcnt(0)
	v_mul_f64 v[27:28], v[13:14], v[25:26]
	v_mul_f64 v[13:14], v[13:14], v[23:24]
	v_fma_f64 v[23:24], v[11:12], v[23:24], v[27:28]
	v_fma_f64 v[11:12], v[11:12], v[25:26], -v[13:14]
	v_add_f64 v[1:2], v[1:2], v[23:24]
	v_add_f64 v[3:4], v[3:4], v[11:12]
	s_andn2_b64 exec, exec, s[20:21]
	s_cbranch_execnz .LBB14_8
; %bb.9:                                ;   in Loop: Header=BB14_6 Depth=1
	s_or_b64 exec, exec, s[20:21]
.LBB14_10:                              ;   in Loop: Header=BB14_6 Depth=1
	s_or_b64 exec, exec, s[18:19]
	s_and_b64 vcc, exec, s[14:15]
	s_cbranch_vccz .LBB14_17
; %bb.11:                               ;   in Loop: Header=BB14_6 Depth=1
	v_cmp_ne_u32_e32 vcc, 63, v21
	v_addc_co_u32_e32 v7, vcc, 0, v20, vcc
	v_lshlrev_b32_e32 v10, 2, v7
	ds_bpermute_b32 v7, v10, v1
	ds_bpermute_b32 v8, v10, v2
	;; [unrolled: 1-line block ×4, first 2 shown]
	v_cmp_gt_u32_e32 vcc, 62, v21
	v_cndmask_b32_e64 v11, 0, 2, vcc
	s_waitcnt lgkmcnt(0)
	v_add_f64 v[7:8], v[1:2], v[7:8]
	v_add_lshl_u32 v14, v11, v20, 2
	s_waitcnt lgkmcnt(0)
	v_add_f64 v[9:10], v[3:4], v[9:10]
	v_cmp_gt_u32_e32 vcc, 60, v21
	ds_bpermute_b32 v11, v14, v7
	ds_bpermute_b32 v12, v14, v8
	ds_bpermute_b32 v13, v14, v9
	ds_bpermute_b32 v14, v14, v10
	s_waitcnt lgkmcnt(0)
	v_add_f64 v[7:8], v[7:8], v[11:12]
	v_cndmask_b32_e64 v11, 0, 4, vcc
	s_waitcnt lgkmcnt(0)
	v_add_f64 v[9:10], v[9:10], v[13:14]
	v_add_lshl_u32 v14, v11, v20, 2
	v_cmp_gt_u32_e32 vcc, 56, v21
	ds_bpermute_b32 v11, v14, v7
	ds_bpermute_b32 v12, v14, v8
	ds_bpermute_b32 v13, v14, v9
	ds_bpermute_b32 v14, v14, v10
	s_waitcnt lgkmcnt(0)
	v_add_f64 v[7:8], v[7:8], v[11:12]
	v_cndmask_b32_e64 v11, 0, 8, vcc
	s_waitcnt lgkmcnt(0)
	v_add_f64 v[9:10], v[9:10], v[13:14]
	v_add_lshl_u32 v14, v11, v20, 2
	;; [unrolled: 11-line block ×3, first 2 shown]
	ds_bpermute_b32 v11, v14, v7
	ds_bpermute_b32 v12, v14, v8
	;; [unrolled: 1-line block ×4, first 2 shown]
	s_waitcnt lgkmcnt(0)
	v_add_f64 v[7:8], v[7:8], v[11:12]
	s_waitcnt lgkmcnt(0)
	v_add_f64 v[9:10], v[9:10], v[13:14]
	ds_bpermute_b32 v11, v22, v7
	ds_bpermute_b32 v12, v22, v8
	ds_bpermute_b32 v13, v22, v9
	ds_bpermute_b32 v14, v22, v10
	s_waitcnt lgkmcnt(0)
	v_add_f64 v[7:8], v[7:8], v[11:12]
	s_waitcnt lgkmcnt(0)
	v_add_f64 v[9:10], v[9:10], v[13:14]
	s_and_saveexec_b64 s[6:7], s[2:3]
; %bb.12:                               ;   in Loop: Header=BB14_6 Depth=1
	ds_write2_b64 v19, v[7:8], v[9:10] offset1:1
; %bb.13:                               ;   in Loop: Header=BB14_6 Depth=1
	s_or_b64 exec, exec, s[6:7]
	s_mov_b64 s[18:19], 0
	s_mov_b64 s[6:7], 0
	s_waitcnt vmcnt(0) lgkmcnt(0)
	s_barrier
                                        ; implicit-def: $vgpr11_vgpr12
                                        ; implicit-def: $vgpr13_vgpr14
	s_and_saveexec_b64 s[20:21], s[4:5]
	s_xor_b64 s[20:21], exec, s[20:21]
	s_cbranch_execz .LBB14_15
; %bb.14:                               ;   in Loop: Header=BB14_6 Depth=1
	ds_read_b128 v[11:14], v16 offset:32784
	ds_read_b128 v[23:26], v16 offset:32800
	s_mov_b64 s[6:7], exec
	s_waitcnt lgkmcnt(1)
	v_add_f64 v[7:8], v[7:8], v[11:12]
	v_add_f64 v[9:10], v[9:10], v[13:14]
	s_waitcnt lgkmcnt(0)
	v_add_f64 v[23:24], v[7:8], v[23:24]
	v_add_f64 v[25:26], v[9:10], v[25:26]
	ds_read_b128 v[7:10], v16 offset:32816
	ds_read_b128 v[11:14], v16 offset:32832
	s_waitcnt lgkmcnt(1)
	v_add_f64 v[7:8], v[23:24], v[7:8]
	v_add_f64 v[9:10], v[25:26], v[9:10]
	s_waitcnt lgkmcnt(0)
	v_add_f64 v[23:24], v[7:8], v[11:12]
	v_add_f64 v[25:26], v[9:10], v[13:14]
	ds_read_b128 v[7:10], v16 offset:32848
	ds_read_b128 v[11:14], v16 offset:32864
	;; [unrolled: 8-line block ×6, first 2 shown]
	s_waitcnt lgkmcnt(1)
	v_add_f64 v[7:8], v[23:24], v[7:8]
	v_add_f64 v[9:10], v[25:26], v[9:10]
	s_waitcnt lgkmcnt(0)
	v_add_f64 v[11:12], v[7:8], v[11:12]
	v_add_f64 v[23:24], v[9:10], v[13:14]
	ds_read_b128 v[7:10], v16 offset:33008
	s_waitcnt lgkmcnt(0)
	v_add_f64 v[13:14], v[11:12], v[7:8]
	v_add_f64 v[11:12], v[23:24], v[9:10]
.LBB14_15:                              ;   in Loop: Header=BB14_6 Depth=1
	s_or_b64 exec, exec, s[20:21]
	s_and_b64 vcc, exec, s[18:19]
	s_cbranch_vccnz .LBB14_18
.LBB14_16:                              ;   in Loop: Header=BB14_6 Depth=1
	v_mov_b32_e32 v3, v11
	v_mov_b32_e32 v1, v13
	;; [unrolled: 1-line block ×4, first 2 shown]
	s_and_saveexec_b64 s[18:19], s[6:7]
	s_cbranch_execnz .LBB14_19
	s_branch .LBB14_20
.LBB14_17:                              ;   in Loop: Header=BB14_6 Depth=1
	s_mov_b64 s[6:7], 0
                                        ; implicit-def: $vgpr11_vgpr12
                                        ; implicit-def: $vgpr13_vgpr14
	s_cbranch_execz .LBB14_16
.LBB14_18:                              ;   in Loop: Header=BB14_6 Depth=1
	s_andn2_b64 s[6:7], s[6:7], exec
	s_and_b64 s[18:19], s[4:5], exec
	s_or_b64 s[6:7], s[6:7], s[18:19]
	s_and_saveexec_b64 s[18:19], s[6:7]
.LBB14_19:                              ;   in Loop: Header=BB14_6 Depth=1
	ds_write_b128 v16, v[1:4] offset:32768
.LBB14_20:                              ;   in Loop: Header=BB14_6 Depth=1
	s_or_b64 exec, exec, s[18:19]
	s_waitcnt vmcnt(0) lgkmcnt(0)
	s_barrier
	s_and_saveexec_b64 s[6:7], s[0:1]
	s_cbranch_execz .LBB14_5
; %bb.21:                               ;   in Loop: Header=BB14_6 Depth=1
	global_load_dwordx4 v[7:10], v16, s[12:13]
	ds_read_b128 v[1:4], v16 offset:32768
	s_mov_b64 s[18:19], 0
	s_waitcnt vmcnt(0) lgkmcnt(0)
	v_mul_f64 v[11:12], v[9:10], v[3:4]
	v_mul_f64 v[9:10], v[9:10], v[1:2]
	v_fma_f64 v[1:2], v[1:2], -v[7:8], -v[11:12]
	v_fma_f64 v[3:4], v[7:8], v[3:4], -v[9:10]
	v_mov_b32_e32 v7, v15
	v_mov_b32_e32 v8, v0
.LBB14_22:                              ;   Parent Loop BB14_6 Depth=1
                                        ; =>  This Inner Loop Header: Depth=2
	flat_load_dwordx4 v[9:12], v[5:6]
	ds_read_b128 v[23:26], v7
	v_add_u32_e32 v8, 0x400, v8
	v_cmp_le_i32_e32 vcc, s10, v8
	s_or_b64 s[18:19], vcc, s[18:19]
	v_add_u32_e32 v7, 0x4000, v7
	s_waitcnt lgkmcnt(0)
	v_mul_f64 v[13:14], v[3:4], v[25:26]
	v_mul_f64 v[25:26], v[1:2], v[25:26]
	v_fma_f64 v[13:14], v[1:2], v[23:24], -v[13:14]
	v_fma_f64 v[23:24], v[3:4], v[23:24], v[25:26]
	s_waitcnt vmcnt(0)
	v_add_f64 v[9:10], v[9:10], v[13:14]
	v_add_f64 v[11:12], v[23:24], v[11:12]
	flat_store_dwordx4 v[5:6], v[9:12]
	v_add_co_u32_e32 v5, vcc, 0x4000, v5
	v_addc_co_u32_e32 v6, vcc, 0, v6, vcc
	s_andn2_b64 exec, exec, s[18:19]
	s_cbranch_execnz .LBB14_22
	s_branch .LBB14_5
.LBB14_23:
	s_endpgm
	.section	.rodata,"a",@progbits
	.p2align	6, 0x0
	.amdhsa_kernel _ZN9rocsolver6v33100L22larf_left_kernel_smallILi1024E19rocblas_complex_numIdEiPKPS3_EEvT1_S7_T2_lS7_lPKT0_lS8_lS7_l
		.amdhsa_group_segment_fixed_size 49152
		.amdhsa_private_segment_fixed_size 0
		.amdhsa_kernarg_size 88
		.amdhsa_user_sgpr_count 6
		.amdhsa_user_sgpr_private_segment_buffer 1
		.amdhsa_user_sgpr_dispatch_ptr 0
		.amdhsa_user_sgpr_queue_ptr 0
		.amdhsa_user_sgpr_kernarg_segment_ptr 1
		.amdhsa_user_sgpr_dispatch_id 0
		.amdhsa_user_sgpr_flat_scratch_init 0
		.amdhsa_user_sgpr_private_segment_size 0
		.amdhsa_uses_dynamic_stack 0
		.amdhsa_system_sgpr_private_segment_wavefront_offset 0
		.amdhsa_system_sgpr_workgroup_id_x 1
		.amdhsa_system_sgpr_workgroup_id_y 1
		.amdhsa_system_sgpr_workgroup_id_z 0
		.amdhsa_system_sgpr_workgroup_info 0
		.amdhsa_system_vgpr_workitem_id 0
		.amdhsa_next_free_vgpr 49
		.amdhsa_next_free_sgpr 98
		.amdhsa_reserve_vcc 1
		.amdhsa_reserve_flat_scratch 0
		.amdhsa_float_round_mode_32 0
		.amdhsa_float_round_mode_16_64 0
		.amdhsa_float_denorm_mode_32 3
		.amdhsa_float_denorm_mode_16_64 3
		.amdhsa_dx10_clamp 1
		.amdhsa_ieee_mode 1
		.amdhsa_fp16_overflow 0
		.amdhsa_exception_fp_ieee_invalid_op 0
		.amdhsa_exception_fp_denorm_src 0
		.amdhsa_exception_fp_ieee_div_zero 0
		.amdhsa_exception_fp_ieee_overflow 0
		.amdhsa_exception_fp_ieee_underflow 0
		.amdhsa_exception_fp_ieee_inexact 0
		.amdhsa_exception_int_div_zero 0
	.end_amdhsa_kernel
	.section	.text._ZN9rocsolver6v33100L22larf_left_kernel_smallILi1024E19rocblas_complex_numIdEiPKPS3_EEvT1_S7_T2_lS7_lPKT0_lS8_lS7_l,"axG",@progbits,_ZN9rocsolver6v33100L22larf_left_kernel_smallILi1024E19rocblas_complex_numIdEiPKPS3_EEvT1_S7_T2_lS7_lPKT0_lS8_lS7_l,comdat
.Lfunc_end14:
	.size	_ZN9rocsolver6v33100L22larf_left_kernel_smallILi1024E19rocblas_complex_numIdEiPKPS3_EEvT1_S7_T2_lS7_lPKT0_lS8_lS7_l, .Lfunc_end14-_ZN9rocsolver6v33100L22larf_left_kernel_smallILi1024E19rocblas_complex_numIdEiPKPS3_EEvT1_S7_T2_lS7_lPKT0_lS8_lS7_l
                                        ; -- End function
	.set _ZN9rocsolver6v33100L22larf_left_kernel_smallILi1024E19rocblas_complex_numIdEiPKPS3_EEvT1_S7_T2_lS7_lPKT0_lS8_lS7_l.num_vgpr, 29
	.set _ZN9rocsolver6v33100L22larf_left_kernel_smallILi1024E19rocblas_complex_numIdEiPKPS3_EEvT1_S7_T2_lS7_lPKT0_lS8_lS7_l.num_agpr, 0
	.set _ZN9rocsolver6v33100L22larf_left_kernel_smallILi1024E19rocblas_complex_numIdEiPKPS3_EEvT1_S7_T2_lS7_lPKT0_lS8_lS7_l.numbered_sgpr, 29
	.set _ZN9rocsolver6v33100L22larf_left_kernel_smallILi1024E19rocblas_complex_numIdEiPKPS3_EEvT1_S7_T2_lS7_lPKT0_lS8_lS7_l.num_named_barrier, 0
	.set _ZN9rocsolver6v33100L22larf_left_kernel_smallILi1024E19rocblas_complex_numIdEiPKPS3_EEvT1_S7_T2_lS7_lPKT0_lS8_lS7_l.private_seg_size, 0
	.set _ZN9rocsolver6v33100L22larf_left_kernel_smallILi1024E19rocblas_complex_numIdEiPKPS3_EEvT1_S7_T2_lS7_lPKT0_lS8_lS7_l.uses_vcc, 1
	.set _ZN9rocsolver6v33100L22larf_left_kernel_smallILi1024E19rocblas_complex_numIdEiPKPS3_EEvT1_S7_T2_lS7_lPKT0_lS8_lS7_l.uses_flat_scratch, 0
	.set _ZN9rocsolver6v33100L22larf_left_kernel_smallILi1024E19rocblas_complex_numIdEiPKPS3_EEvT1_S7_T2_lS7_lPKT0_lS8_lS7_l.has_dyn_sized_stack, 0
	.set _ZN9rocsolver6v33100L22larf_left_kernel_smallILi1024E19rocblas_complex_numIdEiPKPS3_EEvT1_S7_T2_lS7_lPKT0_lS8_lS7_l.has_recursion, 0
	.set _ZN9rocsolver6v33100L22larf_left_kernel_smallILi1024E19rocblas_complex_numIdEiPKPS3_EEvT1_S7_T2_lS7_lPKT0_lS8_lS7_l.has_indirect_call, 0
	.section	.AMDGPU.csdata,"",@progbits
; Kernel info:
; codeLenInByte = 1844
; TotalNumSgprs: 33
; NumVgprs: 29
; ScratchSize: 0
; MemoryBound: 0
; FloatMode: 240
; IeeeMode: 1
; LDSByteSize: 49152 bytes/workgroup (compile time only)
; SGPRBlocks: 12
; VGPRBlocks: 12
; NumSGPRsForWavesPerEU: 102
; NumVGPRsForWavesPerEU: 49
; Occupancy: 4
; WaveLimiterHint : 0
; COMPUTE_PGM_RSRC2:SCRATCH_EN: 0
; COMPUTE_PGM_RSRC2:USER_SGPR: 6
; COMPUTE_PGM_RSRC2:TRAP_HANDLER: 0
; COMPUTE_PGM_RSRC2:TGID_X_EN: 1
; COMPUTE_PGM_RSRC2:TGID_Y_EN: 1
; COMPUTE_PGM_RSRC2:TGID_Z_EN: 0
; COMPUTE_PGM_RSRC2:TIDIG_COMP_CNT: 0
	.section	.text._ZN9rocsolver6v33100L23larf_right_kernel_smallILi64E19rocblas_complex_numIdEiPKPS3_EEvT1_S7_T2_lS7_lPKT0_lS8_lS7_l,"axG",@progbits,_ZN9rocsolver6v33100L23larf_right_kernel_smallILi64E19rocblas_complex_numIdEiPKPS3_EEvT1_S7_T2_lS7_lPKT0_lS8_lS7_l,comdat
	.globl	_ZN9rocsolver6v33100L23larf_right_kernel_smallILi64E19rocblas_complex_numIdEiPKPS3_EEvT1_S7_T2_lS7_lPKT0_lS8_lS7_l ; -- Begin function _ZN9rocsolver6v33100L23larf_right_kernel_smallILi64E19rocblas_complex_numIdEiPKPS3_EEvT1_S7_T2_lS7_lPKT0_lS8_lS7_l
	.p2align	8
	.type	_ZN9rocsolver6v33100L23larf_right_kernel_smallILi64E19rocblas_complex_numIdEiPKPS3_EEvT1_S7_T2_lS7_lPKT0_lS8_lS7_l,@function
_ZN9rocsolver6v33100L23larf_right_kernel_smallILi64E19rocblas_complex_numIdEiPKPS3_EEvT1_S7_T2_lS7_lPKT0_lS8_lS7_l: ; @_ZN9rocsolver6v33100L23larf_right_kernel_smallILi64E19rocblas_complex_numIdEiPKPS3_EEvT1_S7_T2_lS7_lPKT0_lS8_lS7_l
; %bb.0:
	s_load_dwordx8 s[8:15], s[4:5], 0x28
	s_load_dwordx2 s[16:17], s[4:5], 0x0
	s_mov_b32 s2, s7
	s_ashr_i32 s7, s6, 31
	s_lshl_b64 s[20:21], s[6:7], 3
	s_waitcnt lgkmcnt(0)
	s_add_u32 s0, s12, s20
	s_addc_u32 s1, s13, s21
	s_load_dwordx2 s[12:13], s[0:1], 0x0
	v_cmp_gt_i32_e64 s[0:1], s17, v0
	v_lshlrev_b32_e32 v9, 4, v0
	s_and_saveexec_b64 s[18:19], s[0:1]
	s_cbranch_execz .LBB15_3
; %bb.1:
	s_load_dwordx4 s[24:27], s[4:5], 0x8
	s_load_dword s28, s[4:5], 0x18
	v_lshlrev_b32_e32 v3, 4, v0
	v_mov_b32_e32 v5, v0
	s_waitcnt lgkmcnt(0)
	s_add_u32 s20, s24, s20
	s_addc_u32 s21, s25, s21
	s_load_dwordx2 s[22:23], s[20:21], 0x0
	s_lshl_b64 s[24:25], s[26:27], 4
	v_mul_lo_u32 v1, v0, s28
	s_mov_b64 s[20:21], 0
	s_waitcnt lgkmcnt(0)
	s_add_u32 s3, s22, s24
	s_addc_u32 s23, s23, s25
	s_sub_i32 s22, 1, s17
	s_mul_i32 s22, s28, s22
	s_cmp_lt_i32 s28, 1
	s_cselect_b32 s24, s22, 0
	s_lshl_b32 s22, s28, 6
	v_add_u32_e32 v1, s24, v1
	v_mov_b32_e32 v4, s23
.LBB15_2:                               ; =>This Inner Loop Header: Depth=1
	v_ashrrev_i32_e32 v2, 31, v1
	v_lshlrev_b64 v[6:7], 4, v[1:2]
	v_add_u32_e32 v5, 64, v5
	v_add_co_u32_e32 v6, vcc, s3, v6
	v_addc_co_u32_e32 v7, vcc, v4, v7, vcc
	flat_load_dwordx4 v[10:13], v[6:7]
	v_cmp_le_i32_e32 vcc, s17, v5
	v_add_u32_e32 v1, s22, v1
	s_or_b64 s[20:21], vcc, s[20:21]
	s_waitcnt vmcnt(0) lgkmcnt(0)
	ds_write2_b64 v3, v[10:11], v[12:13] offset1:1
	v_add_u32_e32 v3, 0x400, v3
	s_andn2_b64 exec, exec, s[20:21]
	s_cbranch_execnz .LBB15_2
.LBB15_3:
	s_or_b64 exec, exec, s[18:19]
	s_cmp_ge_i32 s2, s16
	s_waitcnt lgkmcnt(0)
	; wave barrier
	s_cbranch_scc1 .LBB15_21
; %bb.4:
	s_load_dword s3, s[4:5], 0x48
	s_lshl_b64 s[4:5], s[14:15], 4
	s_add_u32 s14, s12, s4
	s_addc_u32 s15, s13, s5
	s_mul_i32 s4, s10, s7
	s_mul_hi_u32 s5, s10, s6
	s_add_i32 s4, s5, s4
	s_mul_i32 s5, s11, s6
	s_add_i32 s5, s4, s5
	s_mul_i32 s4, s10, s6
	s_lshl_b64 s[4:5], s[4:5], 4
	s_add_u32 s4, s8, s4
	v_lshrrev_b32_e32 v1, 2, v0
	s_waitcnt lgkmcnt(0)
	v_mul_lo_u32 v10, v0, s3
	s_addc_u32 s5, s9, s5
	v_or_b32_e32 v11, 0x8000, v1
	v_mbcnt_lo_u32_b32 v1, -1, 0
	s_cmp_gt_i32 s17, 1
	v_mbcnt_hi_u32_b32 v13, -1, v1
	v_mov_b32_e32 v1, 0x80
	s_cselect_b64 s[6:7], -1, 0
	v_cmp_eq_u32_e64 s[8:9], 0, v0
	s_lshl_b32 s18, s3, 6
	v_mov_b32_e32 v12, 0
	v_and_b32_e32 v14, 63, v13
	v_lshl_or_b32 v15, v13, 2, v1
	s_branch .LBB15_6
.LBB15_5:                               ;   in Loop: Header=BB15_6 Depth=1
	s_or_b64 exec, exec, s[10:11]
	s_add_i32 s2, s2, 64
	s_cmp_ge_i32 s2, s16
	s_cbranch_scc1 .LBB15_21
.LBB15_6:                               ; =>This Loop Header: Depth=1
                                        ;     Child Loop BB15_8 Depth 2
                                        ;     Child Loop BB15_20 Depth 2
	s_ashr_i32 s3, s2, 31
	s_lshl_b64 s[10:11], s[2:3], 4
	s_add_u32 s3, s14, s10
	v_mov_b32_e32 v3, 0
	v_mov_b32_e32 v1, 0
	;; [unrolled: 1-line block ×4, first 2 shown]
	s_addc_u32 s19, s15, s11
	s_and_saveexec_b64 s[10:11], s[0:1]
	s_cbranch_execz .LBB15_10
; %bb.7:                                ;   in Loop: Header=BB15_6 Depth=1
	v_mov_b32_e32 v3, 0
	v_mov_b32_e32 v1, 0
	;; [unrolled: 1-line block ×3, first 2 shown]
	s_mov_b64 s[12:13], 0
	v_mov_b32_e32 v7, s19
	v_mov_b32_e32 v5, v10
	;; [unrolled: 1-line block ×5, first 2 shown]
.LBB15_8:                               ;   Parent Loop BB15_6 Depth=1
                                        ; =>  This Inner Loop Header: Depth=2
	v_ashrrev_i32_e32 v6, 31, v5
	v_lshlrev_b64 v[17:18], 4, v[5:6]
	ds_read_b128 v[21:24], v8
	v_add_co_u32_e32 v17, vcc, s3, v17
	v_addc_co_u32_e32 v18, vcc, v7, v18, vcc
	flat_load_dwordx4 v[17:20], v[17:18]
	v_add_u32_e32 v16, 64, v16
	v_cmp_le_i32_e32 vcc, s17, v16
	v_add_u32_e32 v8, 0x400, v8
	s_or_b64 s[12:13], vcc, s[12:13]
	v_add_u32_e32 v5, s18, v5
	s_waitcnt vmcnt(0) lgkmcnt(0)
	v_mul_f64 v[25:26], v[19:20], v[23:24]
	v_mul_f64 v[23:24], v[17:18], v[23:24]
	v_fma_f64 v[17:18], v[17:18], v[21:22], -v[25:26]
	v_fma_f64 v[19:20], v[19:20], v[21:22], v[23:24]
	v_add_f64 v[1:2], v[1:2], v[17:18]
	v_add_f64 v[3:4], v[3:4], v[19:20]
	s_andn2_b64 exec, exec, s[12:13]
	s_cbranch_execnz .LBB15_8
; %bb.9:                                ;   in Loop: Header=BB15_6 Depth=1
	s_or_b64 exec, exec, s[12:13]
.LBB15_10:                              ;   in Loop: Header=BB15_6 Depth=1
	s_or_b64 exec, exec, s[10:11]
	s_and_b64 vcc, exec, s[6:7]
	s_cbranch_vccz .LBB15_15
; %bb.11:                               ;   in Loop: Header=BB15_6 Depth=1
	v_cmp_ne_u32_e32 vcc, 63, v14
	v_addc_co_u32_e32 v5, vcc, 0, v13, vcc
	v_lshlrev_b32_e32 v8, 2, v5
	ds_bpermute_b32 v5, v8, v1
	ds_bpermute_b32 v6, v8, v2
	;; [unrolled: 1-line block ×4, first 2 shown]
	v_cmp_gt_u32_e32 vcc, 62, v14
	v_cndmask_b32_e64 v16, 0, 2, vcc
	s_waitcnt lgkmcnt(0)
	v_add_f64 v[5:6], v[1:2], v[5:6]
	v_add_lshl_u32 v19, v16, v13, 2
	s_waitcnt lgkmcnt(0)
	v_add_f64 v[7:8], v[3:4], v[7:8]
	v_cmp_gt_u32_e32 vcc, 60, v14
	ds_bpermute_b32 v16, v19, v5
	ds_bpermute_b32 v17, v19, v6
	ds_bpermute_b32 v18, v19, v7
	ds_bpermute_b32 v19, v19, v8
	s_waitcnt lgkmcnt(0)
	v_add_f64 v[5:6], v[5:6], v[16:17]
	v_cndmask_b32_e64 v16, 0, 4, vcc
	s_waitcnt lgkmcnt(0)
	v_add_f64 v[7:8], v[7:8], v[18:19]
	v_add_lshl_u32 v19, v16, v13, 2
	v_cmp_gt_u32_e32 vcc, 56, v14
	ds_bpermute_b32 v16, v19, v5
	ds_bpermute_b32 v17, v19, v6
	ds_bpermute_b32 v18, v19, v7
	ds_bpermute_b32 v19, v19, v8
	s_waitcnt lgkmcnt(0)
	v_add_f64 v[5:6], v[5:6], v[16:17]
	v_cndmask_b32_e64 v16, 0, 8, vcc
	s_waitcnt lgkmcnt(0)
	v_add_f64 v[7:8], v[7:8], v[18:19]
	v_add_lshl_u32 v19, v16, v13, 2
	;; [unrolled: 11-line block ×3, first 2 shown]
	ds_bpermute_b32 v16, v19, v5
	ds_bpermute_b32 v17, v19, v6
	;; [unrolled: 1-line block ×4, first 2 shown]
	s_waitcnt lgkmcnt(0)
	v_add_f64 v[5:6], v[5:6], v[16:17]
	s_waitcnt lgkmcnt(0)
	v_add_f64 v[7:8], v[7:8], v[18:19]
	ds_bpermute_b32 v16, v15, v5
	ds_bpermute_b32 v17, v15, v6
	;; [unrolled: 1-line block ×4, first 2 shown]
	s_waitcnt lgkmcnt(0)
	v_add_f64 v[5:6], v[5:6], v[16:17]
	s_waitcnt lgkmcnt(0)
	v_add_f64 v[7:8], v[7:8], v[18:19]
	s_and_saveexec_b64 s[10:11], s[8:9]
; %bb.12:                               ;   in Loop: Header=BB15_6 Depth=1
	ds_write2_b64 v11, v[5:6], v[7:8] offset1:1
; %bb.13:                               ;   in Loop: Header=BB15_6 Depth=1
	s_or_b64 exec, exec, s[10:11]
	s_waitcnt lgkmcnt(0)
	; wave barrier
	s_mov_b64 s[10:11], s[8:9]
.LBB15_14:                              ;   in Loop: Header=BB15_6 Depth=1
	v_mov_b32_e32 v3, v7
	v_mov_b32_e32 v1, v5
	;; [unrolled: 1-line block ×4, first 2 shown]
	s_and_saveexec_b64 s[12:13], s[10:11]
	s_cbranch_execnz .LBB15_17
	s_branch .LBB15_18
.LBB15_15:                              ;   in Loop: Header=BB15_6 Depth=1
	s_mov_b64 s[10:11], 0
                                        ; implicit-def: $vgpr7_vgpr8
                                        ; implicit-def: $vgpr5_vgpr6
	s_cbranch_execz .LBB15_14
; %bb.16:                               ;   in Loop: Header=BB15_6 Depth=1
	s_andn2_b64 s[10:11], s[10:11], exec
	s_and_b64 s[12:13], s[8:9], exec
	s_or_b64 s[10:11], s[10:11], s[12:13]
	s_and_saveexec_b64 s[12:13], s[10:11]
.LBB15_17:                              ;   in Loop: Header=BB15_6 Depth=1
	ds_write_b128 v12, v[1:4] offset:32768
.LBB15_18:                              ;   in Loop: Header=BB15_6 Depth=1
	s_or_b64 exec, exec, s[12:13]
	s_waitcnt lgkmcnt(0)
	; wave barrier
	s_and_saveexec_b64 s[10:11], s[0:1]
	s_cbranch_execz .LBB15_5
; %bb.19:                               ;   in Loop: Header=BB15_6 Depth=1
	global_load_dwordx4 v[1:4], v12, s[4:5]
	ds_read_b128 v[5:8], v12 offset:32768
	s_mov_b64 s[12:13], 0
	s_waitcnt vmcnt(0) lgkmcnt(0)
	v_mul_f64 v[16:17], v[1:2], v[5:6]
	v_mul_f64 v[18:19], v[1:2], v[7:8]
	v_fma_f64 v[1:2], v[3:4], v[7:8], -v[16:17]
	v_fma_f64 v[3:4], v[5:6], -v[3:4], -v[18:19]
	v_mov_b32_e32 v7, s19
	v_mov_b32_e32 v8, v9
	;; [unrolled: 1-line block ×4, first 2 shown]
.LBB15_20:                              ;   Parent Loop BB15_6 Depth=1
                                        ; =>  This Inner Loop Header: Depth=2
	v_ashrrev_i32_e32 v6, 31, v5
	v_lshlrev_b64 v[17:18], 4, v[5:6]
	ds_read_b128 v[21:24], v8
	v_add_co_u32_e32 v25, vcc, s3, v17
	v_addc_co_u32_e32 v26, vcc, v7, v18, vcc
	flat_load_dwordx4 v[17:20], v[25:26]
	s_waitcnt lgkmcnt(0)
	v_mul_f64 v[27:28], v[3:4], v[23:24]
	v_mul_f64 v[23:24], v[1:2], v[23:24]
	v_add_u32_e32 v16, 64, v16
	v_cmp_le_i32_e32 vcc, s17, v16
	v_add_u32_e32 v8, 0x400, v8
	v_add_u32_e32 v5, s18, v5
	s_or_b64 s[12:13], vcc, s[12:13]
	v_fma_f64 v[27:28], v[1:2], v[21:22], v[27:28]
	v_fma_f64 v[21:22], v[3:4], v[21:22], -v[23:24]
	s_waitcnt vmcnt(0)
	v_add_f64 v[17:18], v[17:18], v[27:28]
	v_add_f64 v[19:20], v[21:22], v[19:20]
	flat_store_dwordx4 v[25:26], v[17:20]
	s_andn2_b64 exec, exec, s[12:13]
	s_cbranch_execnz .LBB15_20
	s_branch .LBB15_5
.LBB15_21:
	s_endpgm
	.section	.rodata,"a",@progbits
	.p2align	6, 0x0
	.amdhsa_kernel _ZN9rocsolver6v33100L23larf_right_kernel_smallILi64E19rocblas_complex_numIdEiPKPS3_EEvT1_S7_T2_lS7_lPKT0_lS8_lS7_l
		.amdhsa_group_segment_fixed_size 32784
		.amdhsa_private_segment_fixed_size 0
		.amdhsa_kernarg_size 88
		.amdhsa_user_sgpr_count 6
		.amdhsa_user_sgpr_private_segment_buffer 1
		.amdhsa_user_sgpr_dispatch_ptr 0
		.amdhsa_user_sgpr_queue_ptr 0
		.amdhsa_user_sgpr_kernarg_segment_ptr 1
		.amdhsa_user_sgpr_dispatch_id 0
		.amdhsa_user_sgpr_flat_scratch_init 0
		.amdhsa_user_sgpr_private_segment_size 0
		.amdhsa_uses_dynamic_stack 0
		.amdhsa_system_sgpr_private_segment_wavefront_offset 0
		.amdhsa_system_sgpr_workgroup_id_x 1
		.amdhsa_system_sgpr_workgroup_id_y 1
		.amdhsa_system_sgpr_workgroup_id_z 0
		.amdhsa_system_sgpr_workgroup_info 0
		.amdhsa_system_vgpr_workitem_id 0
		.amdhsa_next_free_vgpr 129
		.amdhsa_next_free_sgpr 98
		.amdhsa_reserve_vcc 1
		.amdhsa_reserve_flat_scratch 0
		.amdhsa_float_round_mode_32 0
		.amdhsa_float_round_mode_16_64 0
		.amdhsa_float_denorm_mode_32 3
		.amdhsa_float_denorm_mode_16_64 3
		.amdhsa_dx10_clamp 1
		.amdhsa_ieee_mode 1
		.amdhsa_fp16_overflow 0
		.amdhsa_exception_fp_ieee_invalid_op 0
		.amdhsa_exception_fp_denorm_src 0
		.amdhsa_exception_fp_ieee_div_zero 0
		.amdhsa_exception_fp_ieee_overflow 0
		.amdhsa_exception_fp_ieee_underflow 0
		.amdhsa_exception_fp_ieee_inexact 0
		.amdhsa_exception_int_div_zero 0
	.end_amdhsa_kernel
	.section	.text._ZN9rocsolver6v33100L23larf_right_kernel_smallILi64E19rocblas_complex_numIdEiPKPS3_EEvT1_S7_T2_lS7_lPKT0_lS8_lS7_l,"axG",@progbits,_ZN9rocsolver6v33100L23larf_right_kernel_smallILi64E19rocblas_complex_numIdEiPKPS3_EEvT1_S7_T2_lS7_lPKT0_lS8_lS7_l,comdat
.Lfunc_end15:
	.size	_ZN9rocsolver6v33100L23larf_right_kernel_smallILi64E19rocblas_complex_numIdEiPKPS3_EEvT1_S7_T2_lS7_lPKT0_lS8_lS7_l, .Lfunc_end15-_ZN9rocsolver6v33100L23larf_right_kernel_smallILi64E19rocblas_complex_numIdEiPKPS3_EEvT1_S7_T2_lS7_lPKT0_lS8_lS7_l
                                        ; -- End function
	.set _ZN9rocsolver6v33100L23larf_right_kernel_smallILi64E19rocblas_complex_numIdEiPKPS3_EEvT1_S7_T2_lS7_lPKT0_lS8_lS7_l.num_vgpr, 29
	.set _ZN9rocsolver6v33100L23larf_right_kernel_smallILi64E19rocblas_complex_numIdEiPKPS3_EEvT1_S7_T2_lS7_lPKT0_lS8_lS7_l.num_agpr, 0
	.set _ZN9rocsolver6v33100L23larf_right_kernel_smallILi64E19rocblas_complex_numIdEiPKPS3_EEvT1_S7_T2_lS7_lPKT0_lS8_lS7_l.numbered_sgpr, 29
	.set _ZN9rocsolver6v33100L23larf_right_kernel_smallILi64E19rocblas_complex_numIdEiPKPS3_EEvT1_S7_T2_lS7_lPKT0_lS8_lS7_l.num_named_barrier, 0
	.set _ZN9rocsolver6v33100L23larf_right_kernel_smallILi64E19rocblas_complex_numIdEiPKPS3_EEvT1_S7_T2_lS7_lPKT0_lS8_lS7_l.private_seg_size, 0
	.set _ZN9rocsolver6v33100L23larf_right_kernel_smallILi64E19rocblas_complex_numIdEiPKPS3_EEvT1_S7_T2_lS7_lPKT0_lS8_lS7_l.uses_vcc, 1
	.set _ZN9rocsolver6v33100L23larf_right_kernel_smallILi64E19rocblas_complex_numIdEiPKPS3_EEvT1_S7_T2_lS7_lPKT0_lS8_lS7_l.uses_flat_scratch, 0
	.set _ZN9rocsolver6v33100L23larf_right_kernel_smallILi64E19rocblas_complex_numIdEiPKPS3_EEvT1_S7_T2_lS7_lPKT0_lS8_lS7_l.has_dyn_sized_stack, 0
	.set _ZN9rocsolver6v33100L23larf_right_kernel_smallILi64E19rocblas_complex_numIdEiPKPS3_EEvT1_S7_T2_lS7_lPKT0_lS8_lS7_l.has_recursion, 0
	.set _ZN9rocsolver6v33100L23larf_right_kernel_smallILi64E19rocblas_complex_numIdEiPKPS3_EEvT1_S7_T2_lS7_lPKT0_lS8_lS7_l.has_indirect_call, 0
	.section	.AMDGPU.csdata,"",@progbits
; Kernel info:
; codeLenInByte = 1368
; TotalNumSgprs: 33
; NumVgprs: 29
; ScratchSize: 0
; MemoryBound: 0
; FloatMode: 240
; IeeeMode: 1
; LDSByteSize: 32784 bytes/workgroup (compile time only)
; SGPRBlocks: 12
; VGPRBlocks: 32
; NumSGPRsForWavesPerEU: 102
; NumVGPRsForWavesPerEU: 129
; Occupancy: 1
; WaveLimiterHint : 1
; COMPUTE_PGM_RSRC2:SCRATCH_EN: 0
; COMPUTE_PGM_RSRC2:USER_SGPR: 6
; COMPUTE_PGM_RSRC2:TRAP_HANDLER: 0
; COMPUTE_PGM_RSRC2:TGID_X_EN: 1
; COMPUTE_PGM_RSRC2:TGID_Y_EN: 1
; COMPUTE_PGM_RSRC2:TGID_Z_EN: 0
; COMPUTE_PGM_RSRC2:TIDIG_COMP_CNT: 0
	.section	.text._ZN9rocsolver6v33100L23larf_right_kernel_smallILi128E19rocblas_complex_numIdEiPKPS3_EEvT1_S7_T2_lS7_lPKT0_lS8_lS7_l,"axG",@progbits,_ZN9rocsolver6v33100L23larf_right_kernel_smallILi128E19rocblas_complex_numIdEiPKPS3_EEvT1_S7_T2_lS7_lPKT0_lS8_lS7_l,comdat
	.globl	_ZN9rocsolver6v33100L23larf_right_kernel_smallILi128E19rocblas_complex_numIdEiPKPS3_EEvT1_S7_T2_lS7_lPKT0_lS8_lS7_l ; -- Begin function _ZN9rocsolver6v33100L23larf_right_kernel_smallILi128E19rocblas_complex_numIdEiPKPS3_EEvT1_S7_T2_lS7_lPKT0_lS8_lS7_l
	.p2align	8
	.type	_ZN9rocsolver6v33100L23larf_right_kernel_smallILi128E19rocblas_complex_numIdEiPKPS3_EEvT1_S7_T2_lS7_lPKT0_lS8_lS7_l,@function
_ZN9rocsolver6v33100L23larf_right_kernel_smallILi128E19rocblas_complex_numIdEiPKPS3_EEvT1_S7_T2_lS7_lPKT0_lS8_lS7_l: ; @_ZN9rocsolver6v33100L23larf_right_kernel_smallILi128E19rocblas_complex_numIdEiPKPS3_EEvT1_S7_T2_lS7_lPKT0_lS8_lS7_l
; %bb.0:
	s_load_dwordx8 s[8:15], s[4:5], 0x28
	s_load_dwordx2 s[18:19], s[4:5], 0x0
	s_mov_b32 s16, s7
	s_ashr_i32 s7, s6, 31
	s_lshl_b64 s[20:21], s[6:7], 3
	s_waitcnt lgkmcnt(0)
	s_add_u32 s0, s12, s20
	s_addc_u32 s1, s13, s21
	s_load_dwordx2 s[2:3], s[0:1], 0x0
	v_cmp_gt_i32_e64 s[0:1], s19, v0
	v_lshlrev_b32_e32 v13, 4, v0
	s_and_saveexec_b64 s[12:13], s[0:1]
	s_cbranch_execz .LBB16_3
; %bb.1:
	s_load_dwordx4 s[24:27], s[4:5], 0x8
	s_load_dword s28, s[4:5], 0x18
	v_lshlrev_b32_e32 v3, 4, v0
	v_mov_b32_e32 v5, v0
	s_waitcnt lgkmcnt(0)
	s_add_u32 s20, s24, s20
	s_addc_u32 s21, s25, s21
	s_load_dwordx2 s[22:23], s[20:21], 0x0
	s_lshl_b64 s[24:25], s[26:27], 4
	v_mul_lo_u32 v1, v0, s28
	s_mov_b64 s[20:21], 0
	s_waitcnt lgkmcnt(0)
	s_add_u32 s17, s22, s24
	s_addc_u32 s23, s23, s25
	s_sub_i32 s22, 1, s19
	s_mul_i32 s22, s28, s22
	s_cmp_lt_i32 s28, 1
	s_cselect_b32 s24, s22, 0
	s_lshl_b32 s22, s28, 7
	v_add_u32_e32 v1, s24, v1
	v_mov_b32_e32 v4, s23
.LBB16_2:                               ; =>This Inner Loop Header: Depth=1
	v_ashrrev_i32_e32 v2, 31, v1
	v_lshlrev_b64 v[6:7], 4, v[1:2]
	v_add_u32_e32 v5, 0x80, v5
	v_add_co_u32_e32 v6, vcc, s17, v6
	v_addc_co_u32_e32 v7, vcc, v4, v7, vcc
	flat_load_dwordx4 v[6:9], v[6:7]
	v_cmp_le_i32_e32 vcc, s19, v5
	v_add_u32_e32 v1, s22, v1
	s_or_b64 s[20:21], vcc, s[20:21]
	s_waitcnt vmcnt(0) lgkmcnt(0)
	ds_write2_b64 v3, v[6:7], v[8:9] offset1:1
	v_add_u32_e32 v3, 0x800, v3
	s_andn2_b64 exec, exec, s[20:21]
	s_cbranch_execnz .LBB16_2
.LBB16_3:
	s_or_b64 exec, exec, s[12:13]
	s_cmp_ge_i32 s16, s18
	s_waitcnt lgkmcnt(0)
	s_barrier
	s_cbranch_scc1 .LBB16_23
; %bb.4:
	s_load_dword s12, s[4:5], 0x48
	s_lshl_b64 s[4:5], s[14:15], 4
	s_add_u32 s20, s2, s4
	s_addc_u32 s21, s3, s5
	s_mul_i32 s2, s10, s7
	s_mul_hi_u32 s3, s10, s6
	s_add_i32 s2, s3, s2
	s_mul_i32 s3, s11, s6
	s_add_i32 s3, s2, s3
	s_mul_i32 s2, s10, s6
	s_lshl_b64 s[2:3], s[2:3], 4
	s_add_u32 s6, s8, s2
	v_and_b32_e32 v1, 63, v0
	s_addc_u32 s7, s9, s3
	v_cmp_eq_u32_e64 s[2:3], 0, v1
	v_lshrrev_b32_e32 v1, 2, v0
	s_waitcnt lgkmcnt(0)
	v_mul_lo_u32 v14, v0, s12
	v_or_b32_e32 v15, 0x8000, v1
	v_mbcnt_lo_u32_b32 v1, -1, 0
	s_cmp_gt_i32 s19, 1
	v_mbcnt_hi_u32_b32 v17, -1, v1
	v_mov_b32_e32 v1, 0x80
	s_cselect_b64 s[8:9], -1, 0
	v_cmp_eq_u32_e64 s[4:5], 0, v0
	s_lshl_b32 s22, s12, 7
	v_mov_b32_e32 v16, 0
	v_and_b32_e32 v18, 63, v17
	v_lshl_or_b32 v19, v17, 2, v1
	s_branch .LBB16_6
.LBB16_5:                               ;   in Loop: Header=BB16_6 Depth=1
	s_or_b64 exec, exec, s[10:11]
	s_add_i32 s16, s16, 64
	s_cmp_ge_i32 s16, s18
	s_cbranch_scc1 .LBB16_23
.LBB16_6:                               ; =>This Loop Header: Depth=1
                                        ;     Child Loop BB16_8 Depth 2
                                        ;     Child Loop BB16_22 Depth 2
	s_ashr_i32 s17, s16, 31
	s_lshl_b64 s[10:11], s[16:17], 4
	s_add_u32 s17, s20, s10
	v_mov_b32_e32 v3, 0
	v_mov_b32_e32 v1, 0
	;; [unrolled: 1-line block ×4, first 2 shown]
	s_addc_u32 s23, s21, s11
	s_and_saveexec_b64 s[10:11], s[0:1]
	s_cbranch_execz .LBB16_10
; %bb.7:                                ;   in Loop: Header=BB16_6 Depth=1
	v_mov_b32_e32 v3, 0
	v_mov_b32_e32 v1, 0
	;; [unrolled: 1-line block ×3, first 2 shown]
	s_mov_b64 s[12:13], 0
	v_mov_b32_e32 v7, s23
	v_mov_b32_e32 v5, v14
	;; [unrolled: 1-line block ×5, first 2 shown]
.LBB16_8:                               ;   Parent Loop BB16_6 Depth=1
                                        ; =>  This Inner Loop Header: Depth=2
	v_ashrrev_i32_e32 v6, 31, v5
	v_lshlrev_b64 v[10:11], 4, v[5:6]
	ds_read_b128 v[24:27], v8
	v_add_co_u32_e32 v10, vcc, s17, v10
	v_addc_co_u32_e32 v11, vcc, v7, v11, vcc
	flat_load_dwordx4 v[20:23], v[10:11]
	v_add_u32_e32 v9, 0x80, v9
	v_cmp_le_i32_e32 vcc, s19, v9
	v_add_u32_e32 v8, 0x800, v8
	s_or_b64 s[12:13], vcc, s[12:13]
	v_add_u32_e32 v5, s22, v5
	s_waitcnt vmcnt(0) lgkmcnt(0)
	v_mul_f64 v[10:11], v[22:23], v[26:27]
	v_mul_f64 v[26:27], v[20:21], v[26:27]
	v_fma_f64 v[10:11], v[20:21], v[24:25], -v[10:11]
	v_fma_f64 v[20:21], v[22:23], v[24:25], v[26:27]
	v_add_f64 v[1:2], v[1:2], v[10:11]
	v_add_f64 v[3:4], v[3:4], v[20:21]
	s_andn2_b64 exec, exec, s[12:13]
	s_cbranch_execnz .LBB16_8
; %bb.9:                                ;   in Loop: Header=BB16_6 Depth=1
	s_or_b64 exec, exec, s[12:13]
.LBB16_10:                              ;   in Loop: Header=BB16_6 Depth=1
	s_or_b64 exec, exec, s[10:11]
	s_and_b64 vcc, exec, s[8:9]
	s_cbranch_vccz .LBB16_17
; %bb.11:                               ;   in Loop: Header=BB16_6 Depth=1
	v_cmp_ne_u32_e32 vcc, 63, v18
	v_addc_co_u32_e32 v5, vcc, 0, v17, vcc
	v_lshlrev_b32_e32 v8, 2, v5
	ds_bpermute_b32 v5, v8, v1
	ds_bpermute_b32 v6, v8, v2
	;; [unrolled: 1-line block ×4, first 2 shown]
	v_cmp_gt_u32_e32 vcc, 62, v18
	v_cndmask_b32_e64 v9, 0, 2, vcc
	s_waitcnt lgkmcnt(0)
	v_add_f64 v[5:6], v[1:2], v[5:6]
	v_add_lshl_u32 v12, v9, v17, 2
	s_waitcnt lgkmcnt(0)
	v_add_f64 v[7:8], v[3:4], v[7:8]
	v_cmp_gt_u32_e32 vcc, 60, v18
	ds_bpermute_b32 v9, v12, v5
	ds_bpermute_b32 v10, v12, v6
	ds_bpermute_b32 v11, v12, v7
	ds_bpermute_b32 v12, v12, v8
	s_waitcnt lgkmcnt(0)
	v_add_f64 v[5:6], v[5:6], v[9:10]
	v_cndmask_b32_e64 v9, 0, 4, vcc
	s_waitcnt lgkmcnt(0)
	v_add_f64 v[7:8], v[7:8], v[11:12]
	v_add_lshl_u32 v12, v9, v17, 2
	v_cmp_gt_u32_e32 vcc, 56, v18
	ds_bpermute_b32 v9, v12, v5
	ds_bpermute_b32 v10, v12, v6
	ds_bpermute_b32 v11, v12, v7
	ds_bpermute_b32 v12, v12, v8
	s_waitcnt lgkmcnt(0)
	v_add_f64 v[5:6], v[5:6], v[9:10]
	v_cndmask_b32_e64 v9, 0, 8, vcc
	s_waitcnt lgkmcnt(0)
	v_add_f64 v[7:8], v[7:8], v[11:12]
	v_add_lshl_u32 v12, v9, v17, 2
	;; [unrolled: 11-line block ×3, first 2 shown]
	ds_bpermute_b32 v9, v12, v5
	ds_bpermute_b32 v10, v12, v6
	;; [unrolled: 1-line block ×4, first 2 shown]
	s_waitcnt lgkmcnt(0)
	v_add_f64 v[5:6], v[5:6], v[9:10]
	s_waitcnt lgkmcnt(0)
	v_add_f64 v[9:10], v[7:8], v[11:12]
	ds_bpermute_b32 v7, v19, v5
	ds_bpermute_b32 v8, v19, v6
	;; [unrolled: 1-line block ×4, first 2 shown]
	s_waitcnt lgkmcnt(0)
	v_add_f64 v[7:8], v[5:6], v[7:8]
	s_waitcnt lgkmcnt(0)
	v_add_f64 v[11:12], v[9:10], v[11:12]
	s_and_saveexec_b64 s[10:11], s[2:3]
; %bb.12:                               ;   in Loop: Header=BB16_6 Depth=1
	ds_write2_b64 v15, v[7:8], v[11:12] offset1:1
; %bb.13:                               ;   in Loop: Header=BB16_6 Depth=1
	s_or_b64 exec, exec, s[10:11]
	s_mov_b64 s[12:13], 0
	s_mov_b64 s[10:11], 0
	s_waitcnt vmcnt(0) lgkmcnt(0)
	s_barrier
                                        ; implicit-def: $vgpr5_vgpr6
                                        ; implicit-def: $vgpr9_vgpr10
	s_and_saveexec_b64 s[14:15], s[4:5]
	s_xor_b64 s[14:15], exec, s[14:15]
	s_cbranch_execz .LBB16_15
; %bb.14:                               ;   in Loop: Header=BB16_6 Depth=1
	ds_read_b128 v[20:23], v16 offset:32784
	s_mov_b64 s[10:11], exec
	s_waitcnt lgkmcnt(0)
	v_add_f64 v[5:6], v[11:12], v[22:23]
	v_add_f64 v[9:10], v[7:8], v[20:21]
.LBB16_15:                              ;   in Loop: Header=BB16_6 Depth=1
	s_or_b64 exec, exec, s[14:15]
	s_and_b64 vcc, exec, s[12:13]
	s_cbranch_vccnz .LBB16_18
.LBB16_16:                              ;   in Loop: Header=BB16_6 Depth=1
	v_mov_b32_e32 v3, v5
	v_mov_b32_e32 v1, v9
	;; [unrolled: 1-line block ×4, first 2 shown]
	s_and_saveexec_b64 s[12:13], s[10:11]
	s_cbranch_execnz .LBB16_19
	s_branch .LBB16_20
.LBB16_17:                              ;   in Loop: Header=BB16_6 Depth=1
	s_mov_b64 s[10:11], 0
                                        ; implicit-def: $vgpr5_vgpr6
                                        ; implicit-def: $vgpr9_vgpr10
	s_cbranch_execz .LBB16_16
.LBB16_18:                              ;   in Loop: Header=BB16_6 Depth=1
	s_andn2_b64 s[10:11], s[10:11], exec
	s_and_b64 s[12:13], s[4:5], exec
	s_or_b64 s[10:11], s[10:11], s[12:13]
	s_and_saveexec_b64 s[12:13], s[10:11]
.LBB16_19:                              ;   in Loop: Header=BB16_6 Depth=1
	ds_write_b128 v16, v[1:4] offset:32768
.LBB16_20:                              ;   in Loop: Header=BB16_6 Depth=1
	s_or_b64 exec, exec, s[12:13]
	s_waitcnt vmcnt(0) lgkmcnt(0)
	s_barrier
	s_and_saveexec_b64 s[10:11], s[0:1]
	s_cbranch_execz .LBB16_5
; %bb.21:                               ;   in Loop: Header=BB16_6 Depth=1
	global_load_dwordx4 v[1:4], v16, s[6:7]
	ds_read_b128 v[5:8], v16 offset:32768
	s_mov_b64 s[12:13], 0
	s_waitcnt vmcnt(0) lgkmcnt(0)
	v_mul_f64 v[9:10], v[1:2], v[5:6]
	v_mul_f64 v[11:12], v[1:2], v[7:8]
	v_fma_f64 v[1:2], v[3:4], v[7:8], -v[9:10]
	v_fma_f64 v[3:4], v[5:6], -v[3:4], -v[11:12]
	v_mov_b32_e32 v7, s23
	v_mov_b32_e32 v8, v13
	;; [unrolled: 1-line block ×4, first 2 shown]
.LBB16_22:                              ;   Parent Loop BB16_6 Depth=1
                                        ; =>  This Inner Loop Header: Depth=2
	v_ashrrev_i32_e32 v6, 31, v5
	v_lshlrev_b64 v[10:11], 4, v[5:6]
	ds_read_b128 v[24:27], v8
	v_add_co_u32_e32 v10, vcc, s17, v10
	v_addc_co_u32_e32 v11, vcc, v7, v11, vcc
	flat_load_dwordx4 v[20:23], v[10:11]
	s_waitcnt lgkmcnt(0)
	v_mul_f64 v[28:29], v[3:4], v[26:27]
	v_mul_f64 v[26:27], v[1:2], v[26:27]
	v_add_u32_e32 v9, 0x80, v9
	v_cmp_le_i32_e32 vcc, s19, v9
	v_add_u32_e32 v8, 0x800, v8
	v_add_u32_e32 v5, s22, v5
	s_or_b64 s[12:13], vcc, s[12:13]
	v_fma_f64 v[28:29], v[1:2], v[24:25], v[28:29]
	v_fma_f64 v[24:25], v[3:4], v[24:25], -v[26:27]
	s_waitcnt vmcnt(0)
	v_add_f64 v[20:21], v[20:21], v[28:29]
	v_add_f64 v[22:23], v[24:25], v[22:23]
	flat_store_dwordx4 v[10:11], v[20:23]
	s_andn2_b64 exec, exec, s[12:13]
	s_cbranch_execnz .LBB16_22
	s_branch .LBB16_5
.LBB16_23:
	s_endpgm
	.section	.rodata,"a",@progbits
	.p2align	6, 0x0
	.amdhsa_kernel _ZN9rocsolver6v33100L23larf_right_kernel_smallILi128E19rocblas_complex_numIdEiPKPS3_EEvT1_S7_T2_lS7_lPKT0_lS8_lS7_l
		.amdhsa_group_segment_fixed_size 32800
		.amdhsa_private_segment_fixed_size 0
		.amdhsa_kernarg_size 88
		.amdhsa_user_sgpr_count 6
		.amdhsa_user_sgpr_private_segment_buffer 1
		.amdhsa_user_sgpr_dispatch_ptr 0
		.amdhsa_user_sgpr_queue_ptr 0
		.amdhsa_user_sgpr_kernarg_segment_ptr 1
		.amdhsa_user_sgpr_dispatch_id 0
		.amdhsa_user_sgpr_flat_scratch_init 0
		.amdhsa_user_sgpr_private_segment_size 0
		.amdhsa_uses_dynamic_stack 0
		.amdhsa_system_sgpr_private_segment_wavefront_offset 0
		.amdhsa_system_sgpr_workgroup_id_x 1
		.amdhsa_system_sgpr_workgroup_id_y 1
		.amdhsa_system_sgpr_workgroup_id_z 0
		.amdhsa_system_sgpr_workgroup_info 0
		.amdhsa_system_vgpr_workitem_id 0
		.amdhsa_next_free_vgpr 129
		.amdhsa_next_free_sgpr 98
		.amdhsa_reserve_vcc 1
		.amdhsa_reserve_flat_scratch 0
		.amdhsa_float_round_mode_32 0
		.amdhsa_float_round_mode_16_64 0
		.amdhsa_float_denorm_mode_32 3
		.amdhsa_float_denorm_mode_16_64 3
		.amdhsa_dx10_clamp 1
		.amdhsa_ieee_mode 1
		.amdhsa_fp16_overflow 0
		.amdhsa_exception_fp_ieee_invalid_op 0
		.amdhsa_exception_fp_denorm_src 0
		.amdhsa_exception_fp_ieee_div_zero 0
		.amdhsa_exception_fp_ieee_overflow 0
		.amdhsa_exception_fp_ieee_underflow 0
		.amdhsa_exception_fp_ieee_inexact 0
		.amdhsa_exception_int_div_zero 0
	.end_amdhsa_kernel
	.section	.text._ZN9rocsolver6v33100L23larf_right_kernel_smallILi128E19rocblas_complex_numIdEiPKPS3_EEvT1_S7_T2_lS7_lPKT0_lS8_lS7_l,"axG",@progbits,_ZN9rocsolver6v33100L23larf_right_kernel_smallILi128E19rocblas_complex_numIdEiPKPS3_EEvT1_S7_T2_lS7_lPKT0_lS8_lS7_l,comdat
.Lfunc_end16:
	.size	_ZN9rocsolver6v33100L23larf_right_kernel_smallILi128E19rocblas_complex_numIdEiPKPS3_EEvT1_S7_T2_lS7_lPKT0_lS8_lS7_l, .Lfunc_end16-_ZN9rocsolver6v33100L23larf_right_kernel_smallILi128E19rocblas_complex_numIdEiPKPS3_EEvT1_S7_T2_lS7_lPKT0_lS8_lS7_l
                                        ; -- End function
	.set _ZN9rocsolver6v33100L23larf_right_kernel_smallILi128E19rocblas_complex_numIdEiPKPS3_EEvT1_S7_T2_lS7_lPKT0_lS8_lS7_l.num_vgpr, 30
	.set _ZN9rocsolver6v33100L23larf_right_kernel_smallILi128E19rocblas_complex_numIdEiPKPS3_EEvT1_S7_T2_lS7_lPKT0_lS8_lS7_l.num_agpr, 0
	.set _ZN9rocsolver6v33100L23larf_right_kernel_smallILi128E19rocblas_complex_numIdEiPKPS3_EEvT1_S7_T2_lS7_lPKT0_lS8_lS7_l.numbered_sgpr, 29
	.set _ZN9rocsolver6v33100L23larf_right_kernel_smallILi128E19rocblas_complex_numIdEiPKPS3_EEvT1_S7_T2_lS7_lPKT0_lS8_lS7_l.num_named_barrier, 0
	.set _ZN9rocsolver6v33100L23larf_right_kernel_smallILi128E19rocblas_complex_numIdEiPKPS3_EEvT1_S7_T2_lS7_lPKT0_lS8_lS7_l.private_seg_size, 0
	.set _ZN9rocsolver6v33100L23larf_right_kernel_smallILi128E19rocblas_complex_numIdEiPKPS3_EEvT1_S7_T2_lS7_lPKT0_lS8_lS7_l.uses_vcc, 1
	.set _ZN9rocsolver6v33100L23larf_right_kernel_smallILi128E19rocblas_complex_numIdEiPKPS3_EEvT1_S7_T2_lS7_lPKT0_lS8_lS7_l.uses_flat_scratch, 0
	.set _ZN9rocsolver6v33100L23larf_right_kernel_smallILi128E19rocblas_complex_numIdEiPKPS3_EEvT1_S7_T2_lS7_lPKT0_lS8_lS7_l.has_dyn_sized_stack, 0
	.set _ZN9rocsolver6v33100L23larf_right_kernel_smallILi128E19rocblas_complex_numIdEiPKPS3_EEvT1_S7_T2_lS7_lPKT0_lS8_lS7_l.has_recursion, 0
	.set _ZN9rocsolver6v33100L23larf_right_kernel_smallILi128E19rocblas_complex_numIdEiPKPS3_EEvT1_S7_T2_lS7_lPKT0_lS8_lS7_l.has_indirect_call, 0
	.section	.AMDGPU.csdata,"",@progbits
; Kernel info:
; codeLenInByte = 1464
; TotalNumSgprs: 33
; NumVgprs: 30
; ScratchSize: 0
; MemoryBound: 0
; FloatMode: 240
; IeeeMode: 1
; LDSByteSize: 32800 bytes/workgroup (compile time only)
; SGPRBlocks: 12
; VGPRBlocks: 32
; NumSGPRsForWavesPerEU: 102
; NumVGPRsForWavesPerEU: 129
; Occupancy: 1
; WaveLimiterHint : 1
; COMPUTE_PGM_RSRC2:SCRATCH_EN: 0
; COMPUTE_PGM_RSRC2:USER_SGPR: 6
; COMPUTE_PGM_RSRC2:TRAP_HANDLER: 0
; COMPUTE_PGM_RSRC2:TGID_X_EN: 1
; COMPUTE_PGM_RSRC2:TGID_Y_EN: 1
; COMPUTE_PGM_RSRC2:TGID_Z_EN: 0
; COMPUTE_PGM_RSRC2:TIDIG_COMP_CNT: 0
	.section	.text._ZN9rocsolver6v33100L23larf_right_kernel_smallILi256E19rocblas_complex_numIdEiPKPS3_EEvT1_S7_T2_lS7_lPKT0_lS8_lS7_l,"axG",@progbits,_ZN9rocsolver6v33100L23larf_right_kernel_smallILi256E19rocblas_complex_numIdEiPKPS3_EEvT1_S7_T2_lS7_lPKT0_lS8_lS7_l,comdat
	.globl	_ZN9rocsolver6v33100L23larf_right_kernel_smallILi256E19rocblas_complex_numIdEiPKPS3_EEvT1_S7_T2_lS7_lPKT0_lS8_lS7_l ; -- Begin function _ZN9rocsolver6v33100L23larf_right_kernel_smallILi256E19rocblas_complex_numIdEiPKPS3_EEvT1_S7_T2_lS7_lPKT0_lS8_lS7_l
	.p2align	8
	.type	_ZN9rocsolver6v33100L23larf_right_kernel_smallILi256E19rocblas_complex_numIdEiPKPS3_EEvT1_S7_T2_lS7_lPKT0_lS8_lS7_l,@function
_ZN9rocsolver6v33100L23larf_right_kernel_smallILi256E19rocblas_complex_numIdEiPKPS3_EEvT1_S7_T2_lS7_lPKT0_lS8_lS7_l: ; @_ZN9rocsolver6v33100L23larf_right_kernel_smallILi256E19rocblas_complex_numIdEiPKPS3_EEvT1_S7_T2_lS7_lPKT0_lS8_lS7_l
; %bb.0:
	s_load_dwordx8 s[8:15], s[4:5], 0x28
	s_load_dwordx2 s[18:19], s[4:5], 0x0
	s_mov_b32 s16, s7
	s_ashr_i32 s7, s6, 31
	s_lshl_b64 s[20:21], s[6:7], 3
	s_waitcnt lgkmcnt(0)
	s_add_u32 s0, s12, s20
	s_addc_u32 s1, s13, s21
	s_load_dwordx2 s[2:3], s[0:1], 0x0
	v_cmp_gt_i32_e64 s[0:1], s19, v0
	v_lshlrev_b32_e32 v13, 4, v0
	s_and_saveexec_b64 s[12:13], s[0:1]
	s_cbranch_execz .LBB17_3
; %bb.1:
	s_load_dwordx4 s[24:27], s[4:5], 0x8
	s_load_dword s28, s[4:5], 0x18
	v_lshlrev_b32_e32 v3, 4, v0
	v_mov_b32_e32 v5, v0
	s_waitcnt lgkmcnt(0)
	s_add_u32 s20, s24, s20
	s_addc_u32 s21, s25, s21
	s_load_dwordx2 s[22:23], s[20:21], 0x0
	s_lshl_b64 s[24:25], s[26:27], 4
	v_mul_lo_u32 v1, v0, s28
	s_mov_b64 s[20:21], 0
	s_waitcnt lgkmcnt(0)
	s_add_u32 s17, s22, s24
	s_addc_u32 s23, s23, s25
	s_sub_i32 s22, 1, s19
	s_mul_i32 s22, s28, s22
	s_cmp_lt_i32 s28, 1
	s_cselect_b32 s24, s22, 0
	s_lshl_b32 s22, s28, 8
	v_add_u32_e32 v1, s24, v1
	v_mov_b32_e32 v4, s23
.LBB17_2:                               ; =>This Inner Loop Header: Depth=1
	v_ashrrev_i32_e32 v2, 31, v1
	v_lshlrev_b64 v[6:7], 4, v[1:2]
	v_add_u32_e32 v5, 0x100, v5
	v_add_co_u32_e32 v6, vcc, s17, v6
	v_addc_co_u32_e32 v7, vcc, v4, v7, vcc
	flat_load_dwordx4 v[6:9], v[6:7]
	v_cmp_le_i32_e32 vcc, s19, v5
	v_add_u32_e32 v1, s22, v1
	s_or_b64 s[20:21], vcc, s[20:21]
	s_waitcnt vmcnt(0) lgkmcnt(0)
	ds_write2_b64 v3, v[6:7], v[8:9] offset1:1
	v_add_u32_e32 v3, 0x1000, v3
	s_andn2_b64 exec, exec, s[20:21]
	s_cbranch_execnz .LBB17_2
.LBB17_3:
	s_or_b64 exec, exec, s[12:13]
	s_cmp_ge_i32 s16, s18
	s_waitcnt lgkmcnt(0)
	s_barrier
	s_cbranch_scc1 .LBB17_23
; %bb.4:
	s_load_dword s12, s[4:5], 0x48
	s_lshl_b64 s[4:5], s[14:15], 4
	s_add_u32 s20, s2, s4
	s_addc_u32 s21, s3, s5
	s_mul_i32 s2, s10, s7
	s_mul_hi_u32 s3, s10, s6
	s_add_i32 s2, s3, s2
	s_mul_i32 s3, s11, s6
	s_add_i32 s3, s2, s3
	s_mul_i32 s2, s10, s6
	s_lshl_b64 s[2:3], s[2:3], 4
	s_add_u32 s6, s8, s2
	v_and_b32_e32 v1, 63, v0
	s_addc_u32 s7, s9, s3
	v_cmp_eq_u32_e64 s[2:3], 0, v1
	v_lshrrev_b32_e32 v1, 2, v0
	s_waitcnt lgkmcnt(0)
	v_mul_lo_u32 v14, v0, s12
	v_or_b32_e32 v15, 0x8000, v1
	v_mbcnt_lo_u32_b32 v1, -1, 0
	s_cmp_gt_i32 s19, 1
	v_mbcnt_hi_u32_b32 v17, -1, v1
	v_mov_b32_e32 v1, 0x80
	s_cselect_b64 s[8:9], -1, 0
	v_cmp_eq_u32_e64 s[4:5], 0, v0
	s_lshl_b32 s22, s12, 8
	v_mov_b32_e32 v16, 0
	v_and_b32_e32 v18, 63, v17
	v_lshl_or_b32 v19, v17, 2, v1
	s_branch .LBB17_6
.LBB17_5:                               ;   in Loop: Header=BB17_6 Depth=1
	s_or_b64 exec, exec, s[10:11]
	s_add_i32 s16, s16, 64
	s_cmp_ge_i32 s16, s18
	s_cbranch_scc1 .LBB17_23
.LBB17_6:                               ; =>This Loop Header: Depth=1
                                        ;     Child Loop BB17_8 Depth 2
                                        ;     Child Loop BB17_22 Depth 2
	s_ashr_i32 s17, s16, 31
	s_lshl_b64 s[10:11], s[16:17], 4
	s_add_u32 s17, s20, s10
	v_mov_b32_e32 v3, 0
	v_mov_b32_e32 v1, 0
	;; [unrolled: 1-line block ×4, first 2 shown]
	s_addc_u32 s23, s21, s11
	s_and_saveexec_b64 s[10:11], s[0:1]
	s_cbranch_execz .LBB17_10
; %bb.7:                                ;   in Loop: Header=BB17_6 Depth=1
	v_mov_b32_e32 v3, 0
	v_mov_b32_e32 v1, 0
	;; [unrolled: 1-line block ×3, first 2 shown]
	s_mov_b64 s[12:13], 0
	v_mov_b32_e32 v7, s23
	v_mov_b32_e32 v5, v14
	;; [unrolled: 1-line block ×5, first 2 shown]
.LBB17_8:                               ;   Parent Loop BB17_6 Depth=1
                                        ; =>  This Inner Loop Header: Depth=2
	v_ashrrev_i32_e32 v6, 31, v5
	v_lshlrev_b64 v[10:11], 4, v[5:6]
	ds_read_b128 v[24:27], v8
	v_add_co_u32_e32 v10, vcc, s17, v10
	v_addc_co_u32_e32 v11, vcc, v7, v11, vcc
	flat_load_dwordx4 v[20:23], v[10:11]
	v_add_u32_e32 v9, 0x100, v9
	v_cmp_le_i32_e32 vcc, s19, v9
	v_add_u32_e32 v8, 0x1000, v8
	s_or_b64 s[12:13], vcc, s[12:13]
	v_add_u32_e32 v5, s22, v5
	s_waitcnt vmcnt(0) lgkmcnt(0)
	v_mul_f64 v[10:11], v[22:23], v[26:27]
	v_mul_f64 v[26:27], v[20:21], v[26:27]
	v_fma_f64 v[10:11], v[20:21], v[24:25], -v[10:11]
	v_fma_f64 v[20:21], v[22:23], v[24:25], v[26:27]
	v_add_f64 v[1:2], v[1:2], v[10:11]
	v_add_f64 v[3:4], v[3:4], v[20:21]
	s_andn2_b64 exec, exec, s[12:13]
	s_cbranch_execnz .LBB17_8
; %bb.9:                                ;   in Loop: Header=BB17_6 Depth=1
	s_or_b64 exec, exec, s[12:13]
.LBB17_10:                              ;   in Loop: Header=BB17_6 Depth=1
	s_or_b64 exec, exec, s[10:11]
	s_and_b64 vcc, exec, s[8:9]
	s_cbranch_vccz .LBB17_17
; %bb.11:                               ;   in Loop: Header=BB17_6 Depth=1
	v_cmp_ne_u32_e32 vcc, 63, v18
	v_addc_co_u32_e32 v5, vcc, 0, v17, vcc
	v_lshlrev_b32_e32 v8, 2, v5
	ds_bpermute_b32 v5, v8, v1
	ds_bpermute_b32 v6, v8, v2
	;; [unrolled: 1-line block ×4, first 2 shown]
	v_cmp_gt_u32_e32 vcc, 62, v18
	v_cndmask_b32_e64 v9, 0, 2, vcc
	s_waitcnt lgkmcnt(0)
	v_add_f64 v[5:6], v[1:2], v[5:6]
	v_add_lshl_u32 v12, v9, v17, 2
	s_waitcnt lgkmcnt(0)
	v_add_f64 v[7:8], v[3:4], v[7:8]
	v_cmp_gt_u32_e32 vcc, 60, v18
	ds_bpermute_b32 v9, v12, v5
	ds_bpermute_b32 v10, v12, v6
	ds_bpermute_b32 v11, v12, v7
	ds_bpermute_b32 v12, v12, v8
	s_waitcnt lgkmcnt(0)
	v_add_f64 v[5:6], v[5:6], v[9:10]
	v_cndmask_b32_e64 v9, 0, 4, vcc
	s_waitcnt lgkmcnt(0)
	v_add_f64 v[7:8], v[7:8], v[11:12]
	v_add_lshl_u32 v12, v9, v17, 2
	v_cmp_gt_u32_e32 vcc, 56, v18
	ds_bpermute_b32 v9, v12, v5
	ds_bpermute_b32 v10, v12, v6
	ds_bpermute_b32 v11, v12, v7
	ds_bpermute_b32 v12, v12, v8
	s_waitcnt lgkmcnt(0)
	v_add_f64 v[5:6], v[5:6], v[9:10]
	v_cndmask_b32_e64 v9, 0, 8, vcc
	s_waitcnt lgkmcnt(0)
	v_add_f64 v[7:8], v[7:8], v[11:12]
	v_add_lshl_u32 v12, v9, v17, 2
	;; [unrolled: 11-line block ×3, first 2 shown]
	ds_bpermute_b32 v9, v12, v5
	ds_bpermute_b32 v10, v12, v6
	;; [unrolled: 1-line block ×4, first 2 shown]
	s_waitcnt lgkmcnt(0)
	v_add_f64 v[5:6], v[5:6], v[9:10]
	s_waitcnt lgkmcnt(0)
	v_add_f64 v[7:8], v[7:8], v[11:12]
	ds_bpermute_b32 v9, v19, v5
	ds_bpermute_b32 v10, v19, v6
	;; [unrolled: 1-line block ×4, first 2 shown]
	s_waitcnt lgkmcnt(0)
	v_add_f64 v[5:6], v[5:6], v[9:10]
	s_waitcnt lgkmcnt(0)
	v_add_f64 v[7:8], v[7:8], v[11:12]
	s_and_saveexec_b64 s[10:11], s[2:3]
; %bb.12:                               ;   in Loop: Header=BB17_6 Depth=1
	ds_write2_b64 v15, v[5:6], v[7:8] offset1:1
; %bb.13:                               ;   in Loop: Header=BB17_6 Depth=1
	s_or_b64 exec, exec, s[10:11]
	s_mov_b64 s[12:13], 0
	s_mov_b64 s[10:11], 0
	s_waitcnt vmcnt(0) lgkmcnt(0)
	s_barrier
                                        ; implicit-def: $vgpr9_vgpr10
                                        ; implicit-def: $vgpr11_vgpr12
	s_and_saveexec_b64 s[14:15], s[4:5]
	s_xor_b64 s[14:15], exec, s[14:15]
	s_cbranch_execz .LBB17_15
; %bb.14:                               ;   in Loop: Header=BB17_6 Depth=1
	ds_read_b128 v[9:12], v16 offset:32784
	ds_read_b128 v[20:23], v16 offset:32800
	s_mov_b64 s[10:11], exec
	s_waitcnt lgkmcnt(1)
	v_add_f64 v[5:6], v[5:6], v[9:10]
	v_add_f64 v[7:8], v[7:8], v[11:12]
	s_waitcnt lgkmcnt(0)
	v_add_f64 v[9:10], v[5:6], v[20:21]
	v_add_f64 v[20:21], v[7:8], v[22:23]
	ds_read_b128 v[5:8], v16 offset:32816
	s_waitcnt lgkmcnt(0)
	v_add_f64 v[11:12], v[9:10], v[5:6]
	v_add_f64 v[9:10], v[20:21], v[7:8]
.LBB17_15:                              ;   in Loop: Header=BB17_6 Depth=1
	s_or_b64 exec, exec, s[14:15]
	s_and_b64 vcc, exec, s[12:13]
	s_cbranch_vccnz .LBB17_18
.LBB17_16:                              ;   in Loop: Header=BB17_6 Depth=1
	v_mov_b32_e32 v3, v9
	v_mov_b32_e32 v1, v11
	;; [unrolled: 1-line block ×4, first 2 shown]
	s_and_saveexec_b64 s[12:13], s[10:11]
	s_cbranch_execnz .LBB17_19
	s_branch .LBB17_20
.LBB17_17:                              ;   in Loop: Header=BB17_6 Depth=1
	s_mov_b64 s[10:11], 0
                                        ; implicit-def: $vgpr9_vgpr10
                                        ; implicit-def: $vgpr11_vgpr12
	s_cbranch_execz .LBB17_16
.LBB17_18:                              ;   in Loop: Header=BB17_6 Depth=1
	s_andn2_b64 s[10:11], s[10:11], exec
	s_and_b64 s[12:13], s[4:5], exec
	s_or_b64 s[10:11], s[10:11], s[12:13]
	s_and_saveexec_b64 s[12:13], s[10:11]
.LBB17_19:                              ;   in Loop: Header=BB17_6 Depth=1
	ds_write_b128 v16, v[1:4] offset:32768
.LBB17_20:                              ;   in Loop: Header=BB17_6 Depth=1
	s_or_b64 exec, exec, s[12:13]
	s_waitcnt vmcnt(0) lgkmcnt(0)
	s_barrier
	s_and_saveexec_b64 s[10:11], s[0:1]
	s_cbranch_execz .LBB17_5
; %bb.21:                               ;   in Loop: Header=BB17_6 Depth=1
	global_load_dwordx4 v[1:4], v16, s[6:7]
	ds_read_b128 v[5:8], v16 offset:32768
	s_mov_b64 s[12:13], 0
	s_waitcnt vmcnt(0) lgkmcnt(0)
	v_mul_f64 v[9:10], v[1:2], v[5:6]
	v_mul_f64 v[11:12], v[1:2], v[7:8]
	v_fma_f64 v[1:2], v[3:4], v[7:8], -v[9:10]
	v_fma_f64 v[3:4], v[5:6], -v[3:4], -v[11:12]
	v_mov_b32_e32 v7, s23
	v_mov_b32_e32 v8, v13
	v_mov_b32_e32 v5, v14
	v_mov_b32_e32 v9, v0
.LBB17_22:                              ;   Parent Loop BB17_6 Depth=1
                                        ; =>  This Inner Loop Header: Depth=2
	v_ashrrev_i32_e32 v6, 31, v5
	v_lshlrev_b64 v[10:11], 4, v[5:6]
	ds_read_b128 v[24:27], v8
	v_add_co_u32_e32 v10, vcc, s17, v10
	v_addc_co_u32_e32 v11, vcc, v7, v11, vcc
	flat_load_dwordx4 v[20:23], v[10:11]
	s_waitcnt lgkmcnt(0)
	v_mul_f64 v[28:29], v[3:4], v[26:27]
	v_mul_f64 v[26:27], v[1:2], v[26:27]
	v_add_u32_e32 v9, 0x100, v9
	v_cmp_le_i32_e32 vcc, s19, v9
	v_add_u32_e32 v8, 0x1000, v8
	v_add_u32_e32 v5, s22, v5
	s_or_b64 s[12:13], vcc, s[12:13]
	v_fma_f64 v[28:29], v[1:2], v[24:25], v[28:29]
	v_fma_f64 v[24:25], v[3:4], v[24:25], -v[26:27]
	s_waitcnt vmcnt(0)
	v_add_f64 v[20:21], v[20:21], v[28:29]
	v_add_f64 v[22:23], v[24:25], v[22:23]
	flat_store_dwordx4 v[10:11], v[20:23]
	s_andn2_b64 exec, exec, s[12:13]
	s_cbranch_execnz .LBB17_22
	s_branch .LBB17_5
.LBB17_23:
	s_endpgm
	.section	.rodata,"a",@progbits
	.p2align	6, 0x0
	.amdhsa_kernel _ZN9rocsolver6v33100L23larf_right_kernel_smallILi256E19rocblas_complex_numIdEiPKPS3_EEvT1_S7_T2_lS7_lPKT0_lS8_lS7_l
		.amdhsa_group_segment_fixed_size 32832
		.amdhsa_private_segment_fixed_size 0
		.amdhsa_kernarg_size 88
		.amdhsa_user_sgpr_count 6
		.amdhsa_user_sgpr_private_segment_buffer 1
		.amdhsa_user_sgpr_dispatch_ptr 0
		.amdhsa_user_sgpr_queue_ptr 0
		.amdhsa_user_sgpr_kernarg_segment_ptr 1
		.amdhsa_user_sgpr_dispatch_id 0
		.amdhsa_user_sgpr_flat_scratch_init 0
		.amdhsa_user_sgpr_private_segment_size 0
		.amdhsa_uses_dynamic_stack 0
		.amdhsa_system_sgpr_private_segment_wavefront_offset 0
		.amdhsa_system_sgpr_workgroup_id_x 1
		.amdhsa_system_sgpr_workgroup_id_y 1
		.amdhsa_system_sgpr_workgroup_id_z 0
		.amdhsa_system_sgpr_workgroup_info 0
		.amdhsa_system_vgpr_workitem_id 0
		.amdhsa_next_free_vgpr 129
		.amdhsa_next_free_sgpr 98
		.amdhsa_reserve_vcc 1
		.amdhsa_reserve_flat_scratch 0
		.amdhsa_float_round_mode_32 0
		.amdhsa_float_round_mode_16_64 0
		.amdhsa_float_denorm_mode_32 3
		.amdhsa_float_denorm_mode_16_64 3
		.amdhsa_dx10_clamp 1
		.amdhsa_ieee_mode 1
		.amdhsa_fp16_overflow 0
		.amdhsa_exception_fp_ieee_invalid_op 0
		.amdhsa_exception_fp_denorm_src 0
		.amdhsa_exception_fp_ieee_div_zero 0
		.amdhsa_exception_fp_ieee_overflow 0
		.amdhsa_exception_fp_ieee_underflow 0
		.amdhsa_exception_fp_ieee_inexact 0
		.amdhsa_exception_int_div_zero 0
	.end_amdhsa_kernel
	.section	.text._ZN9rocsolver6v33100L23larf_right_kernel_smallILi256E19rocblas_complex_numIdEiPKPS3_EEvT1_S7_T2_lS7_lPKT0_lS8_lS7_l,"axG",@progbits,_ZN9rocsolver6v33100L23larf_right_kernel_smallILi256E19rocblas_complex_numIdEiPKPS3_EEvT1_S7_T2_lS7_lPKT0_lS8_lS7_l,comdat
.Lfunc_end17:
	.size	_ZN9rocsolver6v33100L23larf_right_kernel_smallILi256E19rocblas_complex_numIdEiPKPS3_EEvT1_S7_T2_lS7_lPKT0_lS8_lS7_l, .Lfunc_end17-_ZN9rocsolver6v33100L23larf_right_kernel_smallILi256E19rocblas_complex_numIdEiPKPS3_EEvT1_S7_T2_lS7_lPKT0_lS8_lS7_l
                                        ; -- End function
	.set _ZN9rocsolver6v33100L23larf_right_kernel_smallILi256E19rocblas_complex_numIdEiPKPS3_EEvT1_S7_T2_lS7_lPKT0_lS8_lS7_l.num_vgpr, 30
	.set _ZN9rocsolver6v33100L23larf_right_kernel_smallILi256E19rocblas_complex_numIdEiPKPS3_EEvT1_S7_T2_lS7_lPKT0_lS8_lS7_l.num_agpr, 0
	.set _ZN9rocsolver6v33100L23larf_right_kernel_smallILi256E19rocblas_complex_numIdEiPKPS3_EEvT1_S7_T2_lS7_lPKT0_lS8_lS7_l.numbered_sgpr, 29
	.set _ZN9rocsolver6v33100L23larf_right_kernel_smallILi256E19rocblas_complex_numIdEiPKPS3_EEvT1_S7_T2_lS7_lPKT0_lS8_lS7_l.num_named_barrier, 0
	.set _ZN9rocsolver6v33100L23larf_right_kernel_smallILi256E19rocblas_complex_numIdEiPKPS3_EEvT1_S7_T2_lS7_lPKT0_lS8_lS7_l.private_seg_size, 0
	.set _ZN9rocsolver6v33100L23larf_right_kernel_smallILi256E19rocblas_complex_numIdEiPKPS3_EEvT1_S7_T2_lS7_lPKT0_lS8_lS7_l.uses_vcc, 1
	.set _ZN9rocsolver6v33100L23larf_right_kernel_smallILi256E19rocblas_complex_numIdEiPKPS3_EEvT1_S7_T2_lS7_lPKT0_lS8_lS7_l.uses_flat_scratch, 0
	.set _ZN9rocsolver6v33100L23larf_right_kernel_smallILi256E19rocblas_complex_numIdEiPKPS3_EEvT1_S7_T2_lS7_lPKT0_lS8_lS7_l.has_dyn_sized_stack, 0
	.set _ZN9rocsolver6v33100L23larf_right_kernel_smallILi256E19rocblas_complex_numIdEiPKPS3_EEvT1_S7_T2_lS7_lPKT0_lS8_lS7_l.has_recursion, 0
	.set _ZN9rocsolver6v33100L23larf_right_kernel_smallILi256E19rocblas_complex_numIdEiPKPS3_EEvT1_S7_T2_lS7_lPKT0_lS8_lS7_l.has_indirect_call, 0
	.section	.AMDGPU.csdata,"",@progbits
; Kernel info:
; codeLenInByte = 1520
; TotalNumSgprs: 33
; NumVgprs: 30
; ScratchSize: 0
; MemoryBound: 0
; FloatMode: 240
; IeeeMode: 1
; LDSByteSize: 32832 bytes/workgroup (compile time only)
; SGPRBlocks: 12
; VGPRBlocks: 32
; NumSGPRsForWavesPerEU: 102
; NumVGPRsForWavesPerEU: 129
; Occupancy: 1
; WaveLimiterHint : 1
; COMPUTE_PGM_RSRC2:SCRATCH_EN: 0
; COMPUTE_PGM_RSRC2:USER_SGPR: 6
; COMPUTE_PGM_RSRC2:TRAP_HANDLER: 0
; COMPUTE_PGM_RSRC2:TGID_X_EN: 1
; COMPUTE_PGM_RSRC2:TGID_Y_EN: 1
; COMPUTE_PGM_RSRC2:TGID_Z_EN: 0
; COMPUTE_PGM_RSRC2:TIDIG_COMP_CNT: 0
	.section	.text._ZN9rocsolver6v33100L23larf_right_kernel_smallILi512E19rocblas_complex_numIdEiPKPS3_EEvT1_S7_T2_lS7_lPKT0_lS8_lS7_l,"axG",@progbits,_ZN9rocsolver6v33100L23larf_right_kernel_smallILi512E19rocblas_complex_numIdEiPKPS3_EEvT1_S7_T2_lS7_lPKT0_lS8_lS7_l,comdat
	.globl	_ZN9rocsolver6v33100L23larf_right_kernel_smallILi512E19rocblas_complex_numIdEiPKPS3_EEvT1_S7_T2_lS7_lPKT0_lS8_lS7_l ; -- Begin function _ZN9rocsolver6v33100L23larf_right_kernel_smallILi512E19rocblas_complex_numIdEiPKPS3_EEvT1_S7_T2_lS7_lPKT0_lS8_lS7_l
	.p2align	8
	.type	_ZN9rocsolver6v33100L23larf_right_kernel_smallILi512E19rocblas_complex_numIdEiPKPS3_EEvT1_S7_T2_lS7_lPKT0_lS8_lS7_l,@function
_ZN9rocsolver6v33100L23larf_right_kernel_smallILi512E19rocblas_complex_numIdEiPKPS3_EEvT1_S7_T2_lS7_lPKT0_lS8_lS7_l: ; @_ZN9rocsolver6v33100L23larf_right_kernel_smallILi512E19rocblas_complex_numIdEiPKPS3_EEvT1_S7_T2_lS7_lPKT0_lS8_lS7_l
; %bb.0:
	s_load_dwordx8 s[8:15], s[4:5], 0x28
	s_load_dwordx2 s[18:19], s[4:5], 0x0
	s_mov_b32 s16, s7
	s_ashr_i32 s7, s6, 31
	s_lshl_b64 s[20:21], s[6:7], 3
	s_waitcnt lgkmcnt(0)
	s_add_u32 s0, s12, s20
	s_addc_u32 s1, s13, s21
	s_load_dwordx2 s[2:3], s[0:1], 0x0
	v_cmp_gt_i32_e64 s[0:1], s19, v0
	v_lshlrev_b32_e32 v13, 4, v0
	s_and_saveexec_b64 s[12:13], s[0:1]
	s_cbranch_execz .LBB18_3
; %bb.1:
	s_load_dwordx4 s[24:27], s[4:5], 0x8
	s_load_dword s28, s[4:5], 0x18
	v_lshlrev_b32_e32 v3, 4, v0
	v_mov_b32_e32 v5, v0
	s_waitcnt lgkmcnt(0)
	s_add_u32 s20, s24, s20
	s_addc_u32 s21, s25, s21
	s_load_dwordx2 s[22:23], s[20:21], 0x0
	s_lshl_b64 s[24:25], s[26:27], 4
	v_mul_lo_u32 v1, v0, s28
	s_mov_b64 s[20:21], 0
	s_waitcnt lgkmcnt(0)
	s_add_u32 s17, s22, s24
	s_addc_u32 s23, s23, s25
	s_sub_i32 s22, 1, s19
	s_mul_i32 s22, s28, s22
	s_cmp_lt_i32 s28, 1
	s_cselect_b32 s24, s22, 0
	s_lshl_b32 s22, s28, 9
	v_add_u32_e32 v1, s24, v1
	v_mov_b32_e32 v4, s23
.LBB18_2:                               ; =>This Inner Loop Header: Depth=1
	v_ashrrev_i32_e32 v2, 31, v1
	v_lshlrev_b64 v[6:7], 4, v[1:2]
	v_add_u32_e32 v5, 0x200, v5
	v_add_co_u32_e32 v6, vcc, s17, v6
	v_addc_co_u32_e32 v7, vcc, v4, v7, vcc
	flat_load_dwordx4 v[6:9], v[6:7]
	v_cmp_le_i32_e32 vcc, s19, v5
	v_add_u32_e32 v1, s22, v1
	s_or_b64 s[20:21], vcc, s[20:21]
	s_waitcnt vmcnt(0) lgkmcnt(0)
	ds_write2_b64 v3, v[6:7], v[8:9] offset1:1
	v_add_u32_e32 v3, 0x2000, v3
	s_andn2_b64 exec, exec, s[20:21]
	s_cbranch_execnz .LBB18_2
.LBB18_3:
	s_or_b64 exec, exec, s[12:13]
	s_cmp_ge_i32 s16, s18
	s_waitcnt lgkmcnt(0)
	s_barrier
	s_cbranch_scc1 .LBB18_23
; %bb.4:
	s_load_dword s12, s[4:5], 0x48
	s_lshl_b64 s[4:5], s[14:15], 4
	s_add_u32 s20, s2, s4
	s_addc_u32 s21, s3, s5
	s_mul_i32 s2, s10, s7
	s_mul_hi_u32 s3, s10, s6
	s_add_i32 s2, s3, s2
	s_mul_i32 s3, s11, s6
	s_add_i32 s3, s2, s3
	s_mul_i32 s2, s10, s6
	s_lshl_b64 s[2:3], s[2:3], 4
	s_add_u32 s6, s8, s2
	v_and_b32_e32 v1, 63, v0
	s_addc_u32 s7, s9, s3
	v_cmp_eq_u32_e64 s[2:3], 0, v1
	v_lshrrev_b32_e32 v1, 2, v0
	s_waitcnt lgkmcnt(0)
	v_mul_lo_u32 v14, v0, s12
	v_or_b32_e32 v15, 0x8000, v1
	v_mbcnt_lo_u32_b32 v1, -1, 0
	s_cmp_gt_i32 s19, 1
	v_mbcnt_hi_u32_b32 v17, -1, v1
	v_mov_b32_e32 v1, 0x80
	s_cselect_b64 s[8:9], -1, 0
	v_cmp_eq_u32_e64 s[4:5], 0, v0
	s_lshl_b32 s22, s12, 9
	v_mov_b32_e32 v16, 0
	v_and_b32_e32 v18, 63, v17
	v_lshl_or_b32 v19, v17, 2, v1
	s_branch .LBB18_6
.LBB18_5:                               ;   in Loop: Header=BB18_6 Depth=1
	s_or_b64 exec, exec, s[10:11]
	s_add_i32 s16, s16, 64
	s_cmp_ge_i32 s16, s18
	s_cbranch_scc1 .LBB18_23
.LBB18_6:                               ; =>This Loop Header: Depth=1
                                        ;     Child Loop BB18_8 Depth 2
                                        ;     Child Loop BB18_22 Depth 2
	s_ashr_i32 s17, s16, 31
	s_lshl_b64 s[10:11], s[16:17], 4
	s_add_u32 s17, s20, s10
	v_mov_b32_e32 v3, 0
	v_mov_b32_e32 v1, 0
	;; [unrolled: 1-line block ×4, first 2 shown]
	s_addc_u32 s23, s21, s11
	s_and_saveexec_b64 s[10:11], s[0:1]
	s_cbranch_execz .LBB18_10
; %bb.7:                                ;   in Loop: Header=BB18_6 Depth=1
	v_mov_b32_e32 v3, 0
	v_mov_b32_e32 v1, 0
	;; [unrolled: 1-line block ×3, first 2 shown]
	s_mov_b64 s[12:13], 0
	v_mov_b32_e32 v7, s23
	v_mov_b32_e32 v5, v14
	;; [unrolled: 1-line block ×5, first 2 shown]
.LBB18_8:                               ;   Parent Loop BB18_6 Depth=1
                                        ; =>  This Inner Loop Header: Depth=2
	v_ashrrev_i32_e32 v6, 31, v5
	v_lshlrev_b64 v[10:11], 4, v[5:6]
	ds_read_b128 v[24:27], v8
	v_add_co_u32_e32 v10, vcc, s17, v10
	v_addc_co_u32_e32 v11, vcc, v7, v11, vcc
	flat_load_dwordx4 v[20:23], v[10:11]
	v_add_u32_e32 v9, 0x200, v9
	v_cmp_le_i32_e32 vcc, s19, v9
	v_add_u32_e32 v8, 0x2000, v8
	s_or_b64 s[12:13], vcc, s[12:13]
	v_add_u32_e32 v5, s22, v5
	s_waitcnt vmcnt(0) lgkmcnt(0)
	v_mul_f64 v[10:11], v[22:23], v[26:27]
	v_mul_f64 v[26:27], v[20:21], v[26:27]
	v_fma_f64 v[10:11], v[20:21], v[24:25], -v[10:11]
	v_fma_f64 v[20:21], v[22:23], v[24:25], v[26:27]
	v_add_f64 v[1:2], v[1:2], v[10:11]
	v_add_f64 v[3:4], v[3:4], v[20:21]
	s_andn2_b64 exec, exec, s[12:13]
	s_cbranch_execnz .LBB18_8
; %bb.9:                                ;   in Loop: Header=BB18_6 Depth=1
	s_or_b64 exec, exec, s[12:13]
.LBB18_10:                              ;   in Loop: Header=BB18_6 Depth=1
	s_or_b64 exec, exec, s[10:11]
	s_and_b64 vcc, exec, s[8:9]
	s_cbranch_vccz .LBB18_17
; %bb.11:                               ;   in Loop: Header=BB18_6 Depth=1
	v_cmp_ne_u32_e32 vcc, 63, v18
	v_addc_co_u32_e32 v5, vcc, 0, v17, vcc
	v_lshlrev_b32_e32 v8, 2, v5
	ds_bpermute_b32 v5, v8, v1
	ds_bpermute_b32 v6, v8, v2
	;; [unrolled: 1-line block ×4, first 2 shown]
	v_cmp_gt_u32_e32 vcc, 62, v18
	v_cndmask_b32_e64 v9, 0, 2, vcc
	s_waitcnt lgkmcnt(0)
	v_add_f64 v[5:6], v[1:2], v[5:6]
	v_add_lshl_u32 v12, v9, v17, 2
	s_waitcnt lgkmcnt(0)
	v_add_f64 v[7:8], v[3:4], v[7:8]
	v_cmp_gt_u32_e32 vcc, 60, v18
	ds_bpermute_b32 v9, v12, v5
	ds_bpermute_b32 v10, v12, v6
	ds_bpermute_b32 v11, v12, v7
	ds_bpermute_b32 v12, v12, v8
	s_waitcnt lgkmcnt(0)
	v_add_f64 v[5:6], v[5:6], v[9:10]
	v_cndmask_b32_e64 v9, 0, 4, vcc
	s_waitcnt lgkmcnt(0)
	v_add_f64 v[7:8], v[7:8], v[11:12]
	v_add_lshl_u32 v12, v9, v17, 2
	v_cmp_gt_u32_e32 vcc, 56, v18
	ds_bpermute_b32 v9, v12, v5
	ds_bpermute_b32 v10, v12, v6
	ds_bpermute_b32 v11, v12, v7
	ds_bpermute_b32 v12, v12, v8
	s_waitcnt lgkmcnt(0)
	v_add_f64 v[5:6], v[5:6], v[9:10]
	v_cndmask_b32_e64 v9, 0, 8, vcc
	s_waitcnt lgkmcnt(0)
	v_add_f64 v[7:8], v[7:8], v[11:12]
	v_add_lshl_u32 v12, v9, v17, 2
	;; [unrolled: 11-line block ×3, first 2 shown]
	ds_bpermute_b32 v9, v12, v5
	ds_bpermute_b32 v10, v12, v6
	ds_bpermute_b32 v11, v12, v7
	ds_bpermute_b32 v12, v12, v8
	s_waitcnt lgkmcnt(0)
	v_add_f64 v[5:6], v[5:6], v[9:10]
	s_waitcnt lgkmcnt(0)
	v_add_f64 v[7:8], v[7:8], v[11:12]
	ds_bpermute_b32 v9, v19, v5
	ds_bpermute_b32 v10, v19, v6
	;; [unrolled: 1-line block ×4, first 2 shown]
	s_waitcnt lgkmcnt(0)
	v_add_f64 v[5:6], v[5:6], v[9:10]
	s_waitcnt lgkmcnt(0)
	v_add_f64 v[7:8], v[7:8], v[11:12]
	s_and_saveexec_b64 s[10:11], s[2:3]
; %bb.12:                               ;   in Loop: Header=BB18_6 Depth=1
	ds_write2_b64 v15, v[5:6], v[7:8] offset1:1
; %bb.13:                               ;   in Loop: Header=BB18_6 Depth=1
	s_or_b64 exec, exec, s[10:11]
	s_mov_b64 s[12:13], 0
	s_mov_b64 s[10:11], 0
	s_waitcnt vmcnt(0) lgkmcnt(0)
	s_barrier
                                        ; implicit-def: $vgpr9_vgpr10
                                        ; implicit-def: $vgpr11_vgpr12
	s_and_saveexec_b64 s[14:15], s[4:5]
	s_xor_b64 s[14:15], exec, s[14:15]
	s_cbranch_execz .LBB18_15
; %bb.14:                               ;   in Loop: Header=BB18_6 Depth=1
	ds_read_b128 v[9:12], v16 offset:32784
	ds_read_b128 v[20:23], v16 offset:32800
	s_mov_b64 s[10:11], exec
	s_waitcnt lgkmcnt(1)
	v_add_f64 v[5:6], v[5:6], v[9:10]
	v_add_f64 v[7:8], v[7:8], v[11:12]
	s_waitcnt lgkmcnt(0)
	v_add_f64 v[20:21], v[5:6], v[20:21]
	v_add_f64 v[22:23], v[7:8], v[22:23]
	ds_read_b128 v[5:8], v16 offset:32816
	ds_read_b128 v[9:12], v16 offset:32832
	s_waitcnt lgkmcnt(1)
	v_add_f64 v[5:6], v[20:21], v[5:6]
	v_add_f64 v[7:8], v[22:23], v[7:8]
	s_waitcnt lgkmcnt(0)
	v_add_f64 v[20:21], v[5:6], v[9:10]
	v_add_f64 v[22:23], v[7:8], v[11:12]
	ds_read_b128 v[5:8], v16 offset:32848
	ds_read_b128 v[9:12], v16 offset:32864
	s_waitcnt lgkmcnt(1)
	v_add_f64 v[5:6], v[20:21], v[5:6]
	v_add_f64 v[7:8], v[22:23], v[7:8]
	s_waitcnt lgkmcnt(0)
	v_add_f64 v[9:10], v[5:6], v[9:10]
	v_add_f64 v[20:21], v[7:8], v[11:12]
	ds_read_b128 v[5:8], v16 offset:32880
	s_waitcnt lgkmcnt(0)
	v_add_f64 v[11:12], v[9:10], v[5:6]
	v_add_f64 v[9:10], v[20:21], v[7:8]
.LBB18_15:                              ;   in Loop: Header=BB18_6 Depth=1
	s_or_b64 exec, exec, s[14:15]
	s_and_b64 vcc, exec, s[12:13]
	s_cbranch_vccnz .LBB18_18
.LBB18_16:                              ;   in Loop: Header=BB18_6 Depth=1
	v_mov_b32_e32 v3, v9
	v_mov_b32_e32 v1, v11
	;; [unrolled: 1-line block ×4, first 2 shown]
	s_and_saveexec_b64 s[12:13], s[10:11]
	s_cbranch_execnz .LBB18_19
	s_branch .LBB18_20
.LBB18_17:                              ;   in Loop: Header=BB18_6 Depth=1
	s_mov_b64 s[10:11], 0
                                        ; implicit-def: $vgpr9_vgpr10
                                        ; implicit-def: $vgpr11_vgpr12
	s_cbranch_execz .LBB18_16
.LBB18_18:                              ;   in Loop: Header=BB18_6 Depth=1
	s_andn2_b64 s[10:11], s[10:11], exec
	s_and_b64 s[12:13], s[4:5], exec
	s_or_b64 s[10:11], s[10:11], s[12:13]
	s_and_saveexec_b64 s[12:13], s[10:11]
.LBB18_19:                              ;   in Loop: Header=BB18_6 Depth=1
	ds_write_b128 v16, v[1:4] offset:32768
.LBB18_20:                              ;   in Loop: Header=BB18_6 Depth=1
	s_or_b64 exec, exec, s[12:13]
	s_waitcnt vmcnt(0) lgkmcnt(0)
	s_barrier
	s_and_saveexec_b64 s[10:11], s[0:1]
	s_cbranch_execz .LBB18_5
; %bb.21:                               ;   in Loop: Header=BB18_6 Depth=1
	global_load_dwordx4 v[1:4], v16, s[6:7]
	ds_read_b128 v[5:8], v16 offset:32768
	s_mov_b64 s[12:13], 0
	s_waitcnt vmcnt(0) lgkmcnt(0)
	v_mul_f64 v[9:10], v[1:2], v[5:6]
	v_mul_f64 v[11:12], v[1:2], v[7:8]
	v_fma_f64 v[1:2], v[3:4], v[7:8], -v[9:10]
	v_fma_f64 v[3:4], v[5:6], -v[3:4], -v[11:12]
	v_mov_b32_e32 v7, v13
	v_mov_b32_e32 v5, v14
	;; [unrolled: 1-line block ×3, first 2 shown]
.LBB18_22:                              ;   Parent Loop BB18_6 Depth=1
                                        ; =>  This Inner Loop Header: Depth=2
	v_ashrrev_i32_e32 v6, 31, v5
	v_lshlrev_b64 v[9:10], 4, v[5:6]
	v_mov_b32_e32 v11, s23
	v_add_co_u32_e32 v24, vcc, s17, v9
	v_addc_co_u32_e32 v25, vcc, v11, v10, vcc
	flat_load_dwordx4 v[9:12], v[24:25]
	ds_read_b128 v[20:23], v7
	v_add_u32_e32 v8, 0x200, v8
	v_cmp_le_i32_e32 vcc, s19, v8
	v_add_u32_e32 v7, 0x2000, v7
	v_add_u32_e32 v5, s22, v5
	s_waitcnt lgkmcnt(0)
	v_mul_f64 v[26:27], v[3:4], v[22:23]
	v_mul_f64 v[22:23], v[1:2], v[22:23]
	s_or_b64 s[12:13], vcc, s[12:13]
	v_fma_f64 v[26:27], v[1:2], v[20:21], v[26:27]
	v_fma_f64 v[20:21], v[3:4], v[20:21], -v[22:23]
	s_waitcnt vmcnt(0)
	v_add_f64 v[9:10], v[9:10], v[26:27]
	v_add_f64 v[11:12], v[20:21], v[11:12]
	flat_store_dwordx4 v[24:25], v[9:12]
	s_andn2_b64 exec, exec, s[12:13]
	s_cbranch_execnz .LBB18_22
	s_branch .LBB18_5
.LBB18_23:
	s_endpgm
	.section	.rodata,"a",@progbits
	.p2align	6, 0x0
	.amdhsa_kernel _ZN9rocsolver6v33100L23larf_right_kernel_smallILi512E19rocblas_complex_numIdEiPKPS3_EEvT1_S7_T2_lS7_lPKT0_lS8_lS7_l
		.amdhsa_group_segment_fixed_size 32896
		.amdhsa_private_segment_fixed_size 0
		.amdhsa_kernarg_size 88
		.amdhsa_user_sgpr_count 6
		.amdhsa_user_sgpr_private_segment_buffer 1
		.amdhsa_user_sgpr_dispatch_ptr 0
		.amdhsa_user_sgpr_queue_ptr 0
		.amdhsa_user_sgpr_kernarg_segment_ptr 1
		.amdhsa_user_sgpr_dispatch_id 0
		.amdhsa_user_sgpr_flat_scratch_init 0
		.amdhsa_user_sgpr_private_segment_size 0
		.amdhsa_uses_dynamic_stack 0
		.amdhsa_system_sgpr_private_segment_wavefront_offset 0
		.amdhsa_system_sgpr_workgroup_id_x 1
		.amdhsa_system_sgpr_workgroup_id_y 1
		.amdhsa_system_sgpr_workgroup_id_z 0
		.amdhsa_system_sgpr_workgroup_info 0
		.amdhsa_system_vgpr_workitem_id 0
		.amdhsa_next_free_vgpr 85
		.amdhsa_next_free_sgpr 98
		.amdhsa_reserve_vcc 1
		.amdhsa_reserve_flat_scratch 0
		.amdhsa_float_round_mode_32 0
		.amdhsa_float_round_mode_16_64 0
		.amdhsa_float_denorm_mode_32 3
		.amdhsa_float_denorm_mode_16_64 3
		.amdhsa_dx10_clamp 1
		.amdhsa_ieee_mode 1
		.amdhsa_fp16_overflow 0
		.amdhsa_exception_fp_ieee_invalid_op 0
		.amdhsa_exception_fp_denorm_src 0
		.amdhsa_exception_fp_ieee_div_zero 0
		.amdhsa_exception_fp_ieee_overflow 0
		.amdhsa_exception_fp_ieee_underflow 0
		.amdhsa_exception_fp_ieee_inexact 0
		.amdhsa_exception_int_div_zero 0
	.end_amdhsa_kernel
	.section	.text._ZN9rocsolver6v33100L23larf_right_kernel_smallILi512E19rocblas_complex_numIdEiPKPS3_EEvT1_S7_T2_lS7_lPKT0_lS8_lS7_l,"axG",@progbits,_ZN9rocsolver6v33100L23larf_right_kernel_smallILi512E19rocblas_complex_numIdEiPKPS3_EEvT1_S7_T2_lS7_lPKT0_lS8_lS7_l,comdat
.Lfunc_end18:
	.size	_ZN9rocsolver6v33100L23larf_right_kernel_smallILi512E19rocblas_complex_numIdEiPKPS3_EEvT1_S7_T2_lS7_lPKT0_lS8_lS7_l, .Lfunc_end18-_ZN9rocsolver6v33100L23larf_right_kernel_smallILi512E19rocblas_complex_numIdEiPKPS3_EEvT1_S7_T2_lS7_lPKT0_lS8_lS7_l
                                        ; -- End function
	.set _ZN9rocsolver6v33100L23larf_right_kernel_smallILi512E19rocblas_complex_numIdEiPKPS3_EEvT1_S7_T2_lS7_lPKT0_lS8_lS7_l.num_vgpr, 28
	.set _ZN9rocsolver6v33100L23larf_right_kernel_smallILi512E19rocblas_complex_numIdEiPKPS3_EEvT1_S7_T2_lS7_lPKT0_lS8_lS7_l.num_agpr, 0
	.set _ZN9rocsolver6v33100L23larf_right_kernel_smallILi512E19rocblas_complex_numIdEiPKPS3_EEvT1_S7_T2_lS7_lPKT0_lS8_lS7_l.numbered_sgpr, 29
	.set _ZN9rocsolver6v33100L23larf_right_kernel_smallILi512E19rocblas_complex_numIdEiPKPS3_EEvT1_S7_T2_lS7_lPKT0_lS8_lS7_l.num_named_barrier, 0
	.set _ZN9rocsolver6v33100L23larf_right_kernel_smallILi512E19rocblas_complex_numIdEiPKPS3_EEvT1_S7_T2_lS7_lPKT0_lS8_lS7_l.private_seg_size, 0
	.set _ZN9rocsolver6v33100L23larf_right_kernel_smallILi512E19rocblas_complex_numIdEiPKPS3_EEvT1_S7_T2_lS7_lPKT0_lS8_lS7_l.uses_vcc, 1
	.set _ZN9rocsolver6v33100L23larf_right_kernel_smallILi512E19rocblas_complex_numIdEiPKPS3_EEvT1_S7_T2_lS7_lPKT0_lS8_lS7_l.uses_flat_scratch, 0
	.set _ZN9rocsolver6v33100L23larf_right_kernel_smallILi512E19rocblas_complex_numIdEiPKPS3_EEvT1_S7_T2_lS7_lPKT0_lS8_lS7_l.has_dyn_sized_stack, 0
	.set _ZN9rocsolver6v33100L23larf_right_kernel_smallILi512E19rocblas_complex_numIdEiPKPS3_EEvT1_S7_T2_lS7_lPKT0_lS8_lS7_l.has_recursion, 0
	.set _ZN9rocsolver6v33100L23larf_right_kernel_smallILi512E19rocblas_complex_numIdEiPKPS3_EEvT1_S7_T2_lS7_lPKT0_lS8_lS7_l.has_indirect_call, 0
	.section	.AMDGPU.csdata,"",@progbits
; Kernel info:
; codeLenInByte = 1632
; TotalNumSgprs: 33
; NumVgprs: 28
; ScratchSize: 0
; MemoryBound: 0
; FloatMode: 240
; IeeeMode: 1
; LDSByteSize: 32896 bytes/workgroup (compile time only)
; SGPRBlocks: 12
; VGPRBlocks: 21
; NumSGPRsForWavesPerEU: 102
; NumVGPRsForWavesPerEU: 85
; Occupancy: 2
; WaveLimiterHint : 1
; COMPUTE_PGM_RSRC2:SCRATCH_EN: 0
; COMPUTE_PGM_RSRC2:USER_SGPR: 6
; COMPUTE_PGM_RSRC2:TRAP_HANDLER: 0
; COMPUTE_PGM_RSRC2:TGID_X_EN: 1
; COMPUTE_PGM_RSRC2:TGID_Y_EN: 1
; COMPUTE_PGM_RSRC2:TGID_Z_EN: 0
; COMPUTE_PGM_RSRC2:TIDIG_COMP_CNT: 0
	.section	.text._ZN9rocsolver6v33100L23larf_right_kernel_smallILi1024E19rocblas_complex_numIdEiPKPS3_EEvT1_S7_T2_lS7_lPKT0_lS8_lS7_l,"axG",@progbits,_ZN9rocsolver6v33100L23larf_right_kernel_smallILi1024E19rocblas_complex_numIdEiPKPS3_EEvT1_S7_T2_lS7_lPKT0_lS8_lS7_l,comdat
	.globl	_ZN9rocsolver6v33100L23larf_right_kernel_smallILi1024E19rocblas_complex_numIdEiPKPS3_EEvT1_S7_T2_lS7_lPKT0_lS8_lS7_l ; -- Begin function _ZN9rocsolver6v33100L23larf_right_kernel_smallILi1024E19rocblas_complex_numIdEiPKPS3_EEvT1_S7_T2_lS7_lPKT0_lS8_lS7_l
	.p2align	8
	.type	_ZN9rocsolver6v33100L23larf_right_kernel_smallILi1024E19rocblas_complex_numIdEiPKPS3_EEvT1_S7_T2_lS7_lPKT0_lS8_lS7_l,@function
_ZN9rocsolver6v33100L23larf_right_kernel_smallILi1024E19rocblas_complex_numIdEiPKPS3_EEvT1_S7_T2_lS7_lPKT0_lS8_lS7_l: ; @_ZN9rocsolver6v33100L23larf_right_kernel_smallILi1024E19rocblas_complex_numIdEiPKPS3_EEvT1_S7_T2_lS7_lPKT0_lS8_lS7_l
; %bb.0:
	s_load_dwordx8 s[8:15], s[4:5], 0x28
	s_load_dwordx2 s[18:19], s[4:5], 0x0
	s_mov_b32 s16, s7
	s_ashr_i32 s7, s6, 31
	s_lshl_b64 s[20:21], s[6:7], 3
	s_waitcnt lgkmcnt(0)
	s_add_u32 s0, s12, s20
	s_addc_u32 s1, s13, s21
	s_load_dwordx2 s[2:3], s[0:1], 0x0
	v_cmp_gt_i32_e64 s[0:1], s19, v0
	v_lshlrev_b32_e32 v13, 4, v0
	s_and_saveexec_b64 s[12:13], s[0:1]
	s_cbranch_execz .LBB19_3
; %bb.1:
	s_load_dwordx4 s[24:27], s[4:5], 0x8
	s_load_dword s28, s[4:5], 0x18
	v_lshlrev_b32_e32 v3, 4, v0
	v_mov_b32_e32 v5, v0
	s_waitcnt lgkmcnt(0)
	s_add_u32 s20, s24, s20
	s_addc_u32 s21, s25, s21
	s_load_dwordx2 s[22:23], s[20:21], 0x0
	s_lshl_b64 s[24:25], s[26:27], 4
	v_mul_lo_u32 v1, v0, s28
	s_mov_b64 s[20:21], 0
	s_waitcnt lgkmcnt(0)
	s_add_u32 s17, s22, s24
	s_addc_u32 s23, s23, s25
	s_sub_i32 s22, 1, s19
	s_mul_i32 s22, s28, s22
	s_cmp_lt_i32 s28, 1
	s_cselect_b32 s24, s22, 0
	s_lshl_b32 s22, s28, 10
	v_add_u32_e32 v1, s24, v1
	v_mov_b32_e32 v4, s23
.LBB19_2:                               ; =>This Inner Loop Header: Depth=1
	v_ashrrev_i32_e32 v2, 31, v1
	v_lshlrev_b64 v[6:7], 4, v[1:2]
	v_add_u32_e32 v5, 0x400, v5
	v_add_co_u32_e32 v6, vcc, s17, v6
	v_addc_co_u32_e32 v7, vcc, v4, v7, vcc
	flat_load_dwordx4 v[6:9], v[6:7]
	v_cmp_le_i32_e32 vcc, s19, v5
	v_add_u32_e32 v1, s22, v1
	s_or_b64 s[20:21], vcc, s[20:21]
	s_waitcnt vmcnt(0) lgkmcnt(0)
	ds_write2_b64 v3, v[6:7], v[8:9] offset1:1
	v_add_u32_e32 v3, 0x4000, v3
	s_andn2_b64 exec, exec, s[20:21]
	s_cbranch_execnz .LBB19_2
.LBB19_3:
	s_or_b64 exec, exec, s[12:13]
	s_cmp_ge_i32 s16, s18
	s_waitcnt lgkmcnt(0)
	s_barrier
	s_cbranch_scc1 .LBB19_23
; %bb.4:
	s_load_dword s12, s[4:5], 0x48
	s_lshl_b64 s[4:5], s[14:15], 4
	s_add_u32 s20, s2, s4
	s_addc_u32 s21, s3, s5
	s_mul_i32 s2, s10, s7
	s_mul_hi_u32 s3, s10, s6
	s_add_i32 s2, s3, s2
	s_mul_i32 s3, s11, s6
	s_add_i32 s3, s2, s3
	s_mul_i32 s2, s10, s6
	s_lshl_b64 s[2:3], s[2:3], 4
	s_add_u32 s6, s8, s2
	v_and_b32_e32 v1, 63, v0
	s_addc_u32 s7, s9, s3
	v_cmp_eq_u32_e64 s[2:3], 0, v1
	v_lshrrev_b32_e32 v1, 2, v0
	s_waitcnt lgkmcnt(0)
	v_mul_lo_u32 v14, v0, s12
	v_or_b32_e32 v15, 0x8000, v1
	v_mbcnt_lo_u32_b32 v1, -1, 0
	s_cmp_gt_i32 s19, 1
	v_mbcnt_hi_u32_b32 v17, -1, v1
	v_mov_b32_e32 v1, 0x80
	s_cselect_b64 s[8:9], -1, 0
	v_cmp_eq_u32_e64 s[4:5], 0, v0
	s_lshl_b32 s22, s12, 10
	v_mov_b32_e32 v16, 0
	v_and_b32_e32 v18, 63, v17
	v_lshl_or_b32 v19, v17, 2, v1
	s_branch .LBB19_6
.LBB19_5:                               ;   in Loop: Header=BB19_6 Depth=1
	s_or_b64 exec, exec, s[10:11]
	s_add_i32 s16, s16, 64
	s_cmp_ge_i32 s16, s18
	s_cbranch_scc1 .LBB19_23
.LBB19_6:                               ; =>This Loop Header: Depth=1
                                        ;     Child Loop BB19_8 Depth 2
                                        ;     Child Loop BB19_22 Depth 2
	s_ashr_i32 s17, s16, 31
	s_lshl_b64 s[10:11], s[16:17], 4
	s_add_u32 s17, s20, s10
	v_mov_b32_e32 v3, 0
	v_mov_b32_e32 v1, 0
	;; [unrolled: 1-line block ×4, first 2 shown]
	s_addc_u32 s23, s21, s11
	s_and_saveexec_b64 s[10:11], s[0:1]
	s_cbranch_execz .LBB19_10
; %bb.7:                                ;   in Loop: Header=BB19_6 Depth=1
	v_mov_b32_e32 v3, 0
	v_mov_b32_e32 v1, 0
	;; [unrolled: 1-line block ×3, first 2 shown]
	s_mov_b64 s[12:13], 0
	v_mov_b32_e32 v7, s23
	v_mov_b32_e32 v5, v14
	;; [unrolled: 1-line block ×5, first 2 shown]
.LBB19_8:                               ;   Parent Loop BB19_6 Depth=1
                                        ; =>  This Inner Loop Header: Depth=2
	v_ashrrev_i32_e32 v6, 31, v5
	v_lshlrev_b64 v[10:11], 4, v[5:6]
	ds_read_b128 v[24:27], v8
	v_add_co_u32_e32 v10, vcc, s17, v10
	v_addc_co_u32_e32 v11, vcc, v7, v11, vcc
	flat_load_dwordx4 v[20:23], v[10:11]
	v_add_u32_e32 v9, 0x400, v9
	v_cmp_le_i32_e32 vcc, s19, v9
	v_add_u32_e32 v8, 0x4000, v8
	s_or_b64 s[12:13], vcc, s[12:13]
	v_add_u32_e32 v5, s22, v5
	s_waitcnt vmcnt(0) lgkmcnt(0)
	v_mul_f64 v[10:11], v[22:23], v[26:27]
	v_mul_f64 v[26:27], v[20:21], v[26:27]
	v_fma_f64 v[10:11], v[20:21], v[24:25], -v[10:11]
	v_fma_f64 v[20:21], v[22:23], v[24:25], v[26:27]
	v_add_f64 v[1:2], v[1:2], v[10:11]
	v_add_f64 v[3:4], v[3:4], v[20:21]
	s_andn2_b64 exec, exec, s[12:13]
	s_cbranch_execnz .LBB19_8
; %bb.9:                                ;   in Loop: Header=BB19_6 Depth=1
	s_or_b64 exec, exec, s[12:13]
.LBB19_10:                              ;   in Loop: Header=BB19_6 Depth=1
	s_or_b64 exec, exec, s[10:11]
	s_and_b64 vcc, exec, s[8:9]
	s_cbranch_vccz .LBB19_17
; %bb.11:                               ;   in Loop: Header=BB19_6 Depth=1
	v_cmp_ne_u32_e32 vcc, 63, v18
	v_addc_co_u32_e32 v5, vcc, 0, v17, vcc
	v_lshlrev_b32_e32 v8, 2, v5
	ds_bpermute_b32 v5, v8, v1
	ds_bpermute_b32 v6, v8, v2
	;; [unrolled: 1-line block ×4, first 2 shown]
	v_cmp_gt_u32_e32 vcc, 62, v18
	v_cndmask_b32_e64 v9, 0, 2, vcc
	s_waitcnt lgkmcnt(0)
	v_add_f64 v[5:6], v[1:2], v[5:6]
	v_add_lshl_u32 v12, v9, v17, 2
	s_waitcnt lgkmcnt(0)
	v_add_f64 v[7:8], v[3:4], v[7:8]
	v_cmp_gt_u32_e32 vcc, 60, v18
	ds_bpermute_b32 v9, v12, v5
	ds_bpermute_b32 v10, v12, v6
	ds_bpermute_b32 v11, v12, v7
	ds_bpermute_b32 v12, v12, v8
	s_waitcnt lgkmcnt(0)
	v_add_f64 v[5:6], v[5:6], v[9:10]
	v_cndmask_b32_e64 v9, 0, 4, vcc
	s_waitcnt lgkmcnt(0)
	v_add_f64 v[7:8], v[7:8], v[11:12]
	v_add_lshl_u32 v12, v9, v17, 2
	v_cmp_gt_u32_e32 vcc, 56, v18
	ds_bpermute_b32 v9, v12, v5
	ds_bpermute_b32 v10, v12, v6
	ds_bpermute_b32 v11, v12, v7
	ds_bpermute_b32 v12, v12, v8
	s_waitcnt lgkmcnt(0)
	v_add_f64 v[5:6], v[5:6], v[9:10]
	v_cndmask_b32_e64 v9, 0, 8, vcc
	s_waitcnt lgkmcnt(0)
	v_add_f64 v[7:8], v[7:8], v[11:12]
	v_add_lshl_u32 v12, v9, v17, 2
	v_cmp_gt_u32_e32 vcc, 48, v18
	ds_bpermute_b32 v9, v12, v5
	ds_bpermute_b32 v10, v12, v6
	ds_bpermute_b32 v11, v12, v7
	ds_bpermute_b32 v12, v12, v8
	s_waitcnt lgkmcnt(0)
	v_add_f64 v[5:6], v[5:6], v[9:10]
	v_cndmask_b32_e64 v9, 0, 16, vcc
	s_waitcnt lgkmcnt(0)
	v_add_f64 v[7:8], v[7:8], v[11:12]
	v_add_lshl_u32 v12, v9, v17, 2
	ds_bpermute_b32 v9, v12, v5
	ds_bpermute_b32 v10, v12, v6
	;; [unrolled: 1-line block ×4, first 2 shown]
	s_waitcnt lgkmcnt(0)
	v_add_f64 v[5:6], v[5:6], v[9:10]
	s_waitcnt lgkmcnt(0)
	v_add_f64 v[7:8], v[7:8], v[11:12]
	ds_bpermute_b32 v9, v19, v5
	ds_bpermute_b32 v10, v19, v6
	;; [unrolled: 1-line block ×4, first 2 shown]
	s_waitcnt lgkmcnt(0)
	v_add_f64 v[5:6], v[5:6], v[9:10]
	s_waitcnt lgkmcnt(0)
	v_add_f64 v[7:8], v[7:8], v[11:12]
	s_and_saveexec_b64 s[10:11], s[2:3]
; %bb.12:                               ;   in Loop: Header=BB19_6 Depth=1
	ds_write2_b64 v15, v[5:6], v[7:8] offset1:1
; %bb.13:                               ;   in Loop: Header=BB19_6 Depth=1
	s_or_b64 exec, exec, s[10:11]
	s_mov_b64 s[12:13], 0
	s_mov_b64 s[10:11], 0
	s_waitcnt vmcnt(0) lgkmcnt(0)
	s_barrier
                                        ; implicit-def: $vgpr9_vgpr10
                                        ; implicit-def: $vgpr11_vgpr12
	s_and_saveexec_b64 s[14:15], s[4:5]
	s_xor_b64 s[14:15], exec, s[14:15]
	s_cbranch_execz .LBB19_15
; %bb.14:                               ;   in Loop: Header=BB19_6 Depth=1
	ds_read_b128 v[9:12], v16 offset:32784
	ds_read_b128 v[20:23], v16 offset:32800
	s_mov_b64 s[10:11], exec
	s_waitcnt lgkmcnt(1)
	v_add_f64 v[5:6], v[5:6], v[9:10]
	v_add_f64 v[7:8], v[7:8], v[11:12]
	s_waitcnt lgkmcnt(0)
	v_add_f64 v[20:21], v[5:6], v[20:21]
	v_add_f64 v[22:23], v[7:8], v[22:23]
	ds_read_b128 v[5:8], v16 offset:32816
	ds_read_b128 v[9:12], v16 offset:32832
	s_waitcnt lgkmcnt(1)
	v_add_f64 v[5:6], v[20:21], v[5:6]
	v_add_f64 v[7:8], v[22:23], v[7:8]
	s_waitcnt lgkmcnt(0)
	v_add_f64 v[20:21], v[5:6], v[9:10]
	v_add_f64 v[22:23], v[7:8], v[11:12]
	ds_read_b128 v[5:8], v16 offset:32848
	ds_read_b128 v[9:12], v16 offset:32864
	;; [unrolled: 8-line block ×6, first 2 shown]
	s_waitcnt lgkmcnt(1)
	v_add_f64 v[5:6], v[20:21], v[5:6]
	v_add_f64 v[7:8], v[22:23], v[7:8]
	s_waitcnt lgkmcnt(0)
	v_add_f64 v[9:10], v[5:6], v[9:10]
	v_add_f64 v[20:21], v[7:8], v[11:12]
	ds_read_b128 v[5:8], v16 offset:33008
	s_waitcnt lgkmcnt(0)
	v_add_f64 v[11:12], v[9:10], v[5:6]
	v_add_f64 v[9:10], v[20:21], v[7:8]
.LBB19_15:                              ;   in Loop: Header=BB19_6 Depth=1
	s_or_b64 exec, exec, s[14:15]
	s_and_b64 vcc, exec, s[12:13]
	s_cbranch_vccnz .LBB19_18
.LBB19_16:                              ;   in Loop: Header=BB19_6 Depth=1
	v_mov_b32_e32 v3, v9
	v_mov_b32_e32 v1, v11
	;; [unrolled: 1-line block ×4, first 2 shown]
	s_and_saveexec_b64 s[12:13], s[10:11]
	s_cbranch_execnz .LBB19_19
	s_branch .LBB19_20
.LBB19_17:                              ;   in Loop: Header=BB19_6 Depth=1
	s_mov_b64 s[10:11], 0
                                        ; implicit-def: $vgpr9_vgpr10
                                        ; implicit-def: $vgpr11_vgpr12
	s_cbranch_execz .LBB19_16
.LBB19_18:                              ;   in Loop: Header=BB19_6 Depth=1
	s_andn2_b64 s[10:11], s[10:11], exec
	s_and_b64 s[12:13], s[4:5], exec
	s_or_b64 s[10:11], s[10:11], s[12:13]
	s_and_saveexec_b64 s[12:13], s[10:11]
.LBB19_19:                              ;   in Loop: Header=BB19_6 Depth=1
	ds_write_b128 v16, v[1:4] offset:32768
.LBB19_20:                              ;   in Loop: Header=BB19_6 Depth=1
	s_or_b64 exec, exec, s[12:13]
	s_waitcnt vmcnt(0) lgkmcnt(0)
	s_barrier
	s_and_saveexec_b64 s[10:11], s[0:1]
	s_cbranch_execz .LBB19_5
; %bb.21:                               ;   in Loop: Header=BB19_6 Depth=1
	global_load_dwordx4 v[1:4], v16, s[6:7]
	ds_read_b128 v[5:8], v16 offset:32768
	s_mov_b64 s[12:13], 0
	s_waitcnt vmcnt(0) lgkmcnt(0)
	v_mul_f64 v[9:10], v[1:2], v[5:6]
	v_mul_f64 v[11:12], v[1:2], v[7:8]
	v_fma_f64 v[1:2], v[3:4], v[7:8], -v[9:10]
	v_fma_f64 v[3:4], v[5:6], -v[3:4], -v[11:12]
	v_mov_b32_e32 v7, v13
	v_mov_b32_e32 v5, v14
	;; [unrolled: 1-line block ×3, first 2 shown]
.LBB19_22:                              ;   Parent Loop BB19_6 Depth=1
                                        ; =>  This Inner Loop Header: Depth=2
	v_ashrrev_i32_e32 v6, 31, v5
	v_lshlrev_b64 v[9:10], 4, v[5:6]
	v_mov_b32_e32 v11, s23
	v_add_co_u32_e32 v24, vcc, s17, v9
	v_addc_co_u32_e32 v25, vcc, v11, v10, vcc
	flat_load_dwordx4 v[9:12], v[24:25]
	ds_read_b128 v[20:23], v7
	v_add_u32_e32 v8, 0x400, v8
	v_cmp_le_i32_e32 vcc, s19, v8
	v_add_u32_e32 v7, 0x4000, v7
	v_add_u32_e32 v5, s22, v5
	s_waitcnt lgkmcnt(0)
	v_mul_f64 v[26:27], v[3:4], v[22:23]
	v_mul_f64 v[22:23], v[1:2], v[22:23]
	s_or_b64 s[12:13], vcc, s[12:13]
	v_fma_f64 v[26:27], v[1:2], v[20:21], v[26:27]
	v_fma_f64 v[20:21], v[3:4], v[20:21], -v[22:23]
	s_waitcnt vmcnt(0)
	v_add_f64 v[9:10], v[9:10], v[26:27]
	v_add_f64 v[11:12], v[20:21], v[11:12]
	flat_store_dwordx4 v[24:25], v[9:12]
	s_andn2_b64 exec, exec, s[12:13]
	s_cbranch_execnz .LBB19_22
	s_branch .LBB19_5
.LBB19_23:
	s_endpgm
	.section	.rodata,"a",@progbits
	.p2align	6, 0x0
	.amdhsa_kernel _ZN9rocsolver6v33100L23larf_right_kernel_smallILi1024E19rocblas_complex_numIdEiPKPS3_EEvT1_S7_T2_lS7_lPKT0_lS8_lS7_l
		.amdhsa_group_segment_fixed_size 33024
		.amdhsa_private_segment_fixed_size 0
		.amdhsa_kernarg_size 88
		.amdhsa_user_sgpr_count 6
		.amdhsa_user_sgpr_private_segment_buffer 1
		.amdhsa_user_sgpr_dispatch_ptr 0
		.amdhsa_user_sgpr_queue_ptr 0
		.amdhsa_user_sgpr_kernarg_segment_ptr 1
		.amdhsa_user_sgpr_dispatch_id 0
		.amdhsa_user_sgpr_flat_scratch_init 0
		.amdhsa_user_sgpr_private_segment_size 0
		.amdhsa_uses_dynamic_stack 0
		.amdhsa_system_sgpr_private_segment_wavefront_offset 0
		.amdhsa_system_sgpr_workgroup_id_x 1
		.amdhsa_system_sgpr_workgroup_id_y 1
		.amdhsa_system_sgpr_workgroup_id_z 0
		.amdhsa_system_sgpr_workgroup_info 0
		.amdhsa_system_vgpr_workitem_id 0
		.amdhsa_next_free_vgpr 49
		.amdhsa_next_free_sgpr 98
		.amdhsa_reserve_vcc 1
		.amdhsa_reserve_flat_scratch 0
		.amdhsa_float_round_mode_32 0
		.amdhsa_float_round_mode_16_64 0
		.amdhsa_float_denorm_mode_32 3
		.amdhsa_float_denorm_mode_16_64 3
		.amdhsa_dx10_clamp 1
		.amdhsa_ieee_mode 1
		.amdhsa_fp16_overflow 0
		.amdhsa_exception_fp_ieee_invalid_op 0
		.amdhsa_exception_fp_denorm_src 0
		.amdhsa_exception_fp_ieee_div_zero 0
		.amdhsa_exception_fp_ieee_overflow 0
		.amdhsa_exception_fp_ieee_underflow 0
		.amdhsa_exception_fp_ieee_inexact 0
		.amdhsa_exception_int_div_zero 0
	.end_amdhsa_kernel
	.section	.text._ZN9rocsolver6v33100L23larf_right_kernel_smallILi1024E19rocblas_complex_numIdEiPKPS3_EEvT1_S7_T2_lS7_lPKT0_lS8_lS7_l,"axG",@progbits,_ZN9rocsolver6v33100L23larf_right_kernel_smallILi1024E19rocblas_complex_numIdEiPKPS3_EEvT1_S7_T2_lS7_lPKT0_lS8_lS7_l,comdat
.Lfunc_end19:
	.size	_ZN9rocsolver6v33100L23larf_right_kernel_smallILi1024E19rocblas_complex_numIdEiPKPS3_EEvT1_S7_T2_lS7_lPKT0_lS8_lS7_l, .Lfunc_end19-_ZN9rocsolver6v33100L23larf_right_kernel_smallILi1024E19rocblas_complex_numIdEiPKPS3_EEvT1_S7_T2_lS7_lPKT0_lS8_lS7_l
                                        ; -- End function
	.set _ZN9rocsolver6v33100L23larf_right_kernel_smallILi1024E19rocblas_complex_numIdEiPKPS3_EEvT1_S7_T2_lS7_lPKT0_lS8_lS7_l.num_vgpr, 28
	.set _ZN9rocsolver6v33100L23larf_right_kernel_smallILi1024E19rocblas_complex_numIdEiPKPS3_EEvT1_S7_T2_lS7_lPKT0_lS8_lS7_l.num_agpr, 0
	.set _ZN9rocsolver6v33100L23larf_right_kernel_smallILi1024E19rocblas_complex_numIdEiPKPS3_EEvT1_S7_T2_lS7_lPKT0_lS8_lS7_l.numbered_sgpr, 29
	.set _ZN9rocsolver6v33100L23larf_right_kernel_smallILi1024E19rocblas_complex_numIdEiPKPS3_EEvT1_S7_T2_lS7_lPKT0_lS8_lS7_l.num_named_barrier, 0
	.set _ZN9rocsolver6v33100L23larf_right_kernel_smallILi1024E19rocblas_complex_numIdEiPKPS3_EEvT1_S7_T2_lS7_lPKT0_lS8_lS7_l.private_seg_size, 0
	.set _ZN9rocsolver6v33100L23larf_right_kernel_smallILi1024E19rocblas_complex_numIdEiPKPS3_EEvT1_S7_T2_lS7_lPKT0_lS8_lS7_l.uses_vcc, 1
	.set _ZN9rocsolver6v33100L23larf_right_kernel_smallILi1024E19rocblas_complex_numIdEiPKPS3_EEvT1_S7_T2_lS7_lPKT0_lS8_lS7_l.uses_flat_scratch, 0
	.set _ZN9rocsolver6v33100L23larf_right_kernel_smallILi1024E19rocblas_complex_numIdEiPKPS3_EEvT1_S7_T2_lS7_lPKT0_lS8_lS7_l.has_dyn_sized_stack, 0
	.set _ZN9rocsolver6v33100L23larf_right_kernel_smallILi1024E19rocblas_complex_numIdEiPKPS3_EEvT1_S7_T2_lS7_lPKT0_lS8_lS7_l.has_recursion, 0
	.set _ZN9rocsolver6v33100L23larf_right_kernel_smallILi1024E19rocblas_complex_numIdEiPKPS3_EEvT1_S7_T2_lS7_lPKT0_lS8_lS7_l.has_indirect_call, 0
	.section	.AMDGPU.csdata,"",@progbits
; Kernel info:
; codeLenInByte = 1856
; TotalNumSgprs: 33
; NumVgprs: 28
; ScratchSize: 0
; MemoryBound: 0
; FloatMode: 240
; IeeeMode: 1
; LDSByteSize: 33024 bytes/workgroup (compile time only)
; SGPRBlocks: 12
; VGPRBlocks: 12
; NumSGPRsForWavesPerEU: 102
; NumVGPRsForWavesPerEU: 49
; Occupancy: 4
; WaveLimiterHint : 1
; COMPUTE_PGM_RSRC2:SCRATCH_EN: 0
; COMPUTE_PGM_RSRC2:USER_SGPR: 6
; COMPUTE_PGM_RSRC2:TRAP_HANDLER: 0
; COMPUTE_PGM_RSRC2:TGID_X_EN: 1
; COMPUTE_PGM_RSRC2:TGID_Y_EN: 1
; COMPUTE_PGM_RSRC2:TGID_Z_EN: 0
; COMPUTE_PGM_RSRC2:TIDIG_COMP_CNT: 0
	.section	.text._ZN9rocsolver6v33100L22larf_left_kernel_smallILi64E19rocblas_complex_numIdElPS3_EEvT1_S5_T2_lS5_lPKT0_lS6_lS5_l,"axG",@progbits,_ZN9rocsolver6v33100L22larf_left_kernel_smallILi64E19rocblas_complex_numIdElPS3_EEvT1_S5_T2_lS5_lPKT0_lS6_lS5_l,comdat
	.globl	_ZN9rocsolver6v33100L22larf_left_kernel_smallILi64E19rocblas_complex_numIdElPS3_EEvT1_S5_T2_lS5_lPKT0_lS6_lS5_l ; -- Begin function _ZN9rocsolver6v33100L22larf_left_kernel_smallILi64E19rocblas_complex_numIdElPS3_EEvT1_S5_T2_lS5_lPKT0_lS6_lS5_l
	.p2align	8
	.type	_ZN9rocsolver6v33100L22larf_left_kernel_smallILi64E19rocblas_complex_numIdElPS3_EEvT1_S5_T2_lS5_lPKT0_lS6_lS5_l,@function
_ZN9rocsolver6v33100L22larf_left_kernel_smallILi64E19rocblas_complex_numIdElPS3_EEvT1_S5_T2_lS5_lPKT0_lS6_lS5_l: ; @_ZN9rocsolver6v33100L22larf_left_kernel_smallILi64E19rocblas_complex_numIdElPS3_EEvT1_S5_T2_lS5_lPKT0_lS6_lS5_l
; %bb.0:
	s_load_dwordx16 s[8:23], s[4:5], 0x0
	s_mov_b32 s24, s7
	s_mov_b64 s[26:27], 0
	s_waitcnt lgkmcnt(0)
	v_cmp_gt_i64_e64 s[0:1], s[16:17], 0
	s_and_b64 vcc, exec, s[0:1]
	s_cbranch_vccnz .LBB20_2
; %bb.1:
	s_sub_u32 s0, 1, s8
	s_subb_u32 s1, 0, s9
	s_mul_i32 s1, s16, s1
	s_mul_hi_u32 s2, s16, s0
	s_add_i32 s1, s2, s1
	s_mul_i32 s2, s17, s0
	s_add_i32 s27, s1, s2
	s_mul_i32 s26, s16, s0
.LBB20_2:
	v_mov_b32_e32 v1, 0
	v_cmp_gt_i64_e64 s[0:1], s[8:9], v[0:1]
	v_lshlrev_b32_e32 v14, 4, v0
	s_and_saveexec_b64 s[2:3], s[0:1]
	s_cbranch_execz .LBB20_5
; %bb.3:
	v_mad_u64_u32 v[2:3], s[28:29], s16, v0, 0
	s_mul_i32 s7, s19, s6
	s_mul_hi_u32 s19, s18, s6
	s_add_i32 s19, s19, s7
	s_mul_i32 s18, s18, s6
	s_lshl_b64 s[18:19], s[18:19], 4
	s_lshl_b64 s[26:27], s[26:27], 4
	;; [unrolled: 1-line block ×3, first 2 shown]
	v_mad_u64_u32 v[3:4], s[28:29], s17, v0, v[3:4]
	s_add_u32 s7, s12, s14
	s_addc_u32 s12, s13, s15
	s_add_u32 s7, s7, s26
	s_addc_u32 s12, s12, s27
	v_lshlrev_b64 v[2:3], 4, v[2:3]
	s_add_u32 s7, s7, s18
	s_addc_u32 s12, s12, s19
	v_mov_b32_e32 v4, s12
	v_add_co_u32_e32 v2, vcc, s7, v2
	v_addc_co_u32_e32 v3, vcc, v4, v3, vcc
	s_lshl_b64 s[12:13], s[16:17], 10
	v_mov_b32_e32 v5, v1
	v_lshlrev_b32_e32 v6, 4, v0
	s_mov_b64 s[14:15], 0
	v_mov_b32_e32 v7, s13
	v_mov_b32_e32 v4, v0
.LBB20_4:                               ; =>This Inner Loop Header: Depth=1
	global_load_dwordx4 v[8:11], v[2:3], off
	v_add_co_u32_e32 v4, vcc, 64, v4
	v_addc_co_u32_e32 v5, vcc, 0, v5, vcc
	v_add_co_u32_e32 v2, vcc, s12, v2
	v_addc_co_u32_e32 v3, vcc, v3, v7, vcc
	v_cmp_le_i64_e32 vcc, s[8:9], v[4:5]
	s_or_b64 s[14:15], vcc, s[14:15]
	s_waitcnt vmcnt(0)
	ds_write2_b64 v6, v[8:9], v[10:11] offset1:1
	v_add_u32_e32 v6, 0x400, v6
	s_andn2_b64 exec, exec, s[14:15]
	s_cbranch_execnz .LBB20_4
.LBB20_5:
	s_or_b64 exec, exec, s[2:3]
	s_mov_b32 s25, 0
	v_mov_b32_e32 v2, s24
	v_mov_b32_e32 v3, s25
	v_cmp_le_i64_e32 vcc, s[10:11], v[2:3]
	s_waitcnt lgkmcnt(0)
	; wave barrier
	s_cbranch_vccnz .LBB20_23
; %bb.6:
	s_load_dwordx8 s[12:19], s[4:5], 0x40
	s_mul_i32 s2, s23, s6
	s_mul_hi_u32 s3, s22, s6
	s_add_i32 s3, s3, s2
	s_mul_i32 s2, s22, s6
	s_lshl_b64 s[2:3], s[2:3], 4
	s_add_u32 s20, s20, s2
	s_addc_u32 s21, s21, s3
	s_cmp_gt_i32 s8, 1
	s_waitcnt lgkmcnt(0)
	s_mul_i32 s4, s19, s6
	s_mul_hi_u32 s5, s18, s6
	s_cselect_b64 s[22:23], -1, 0
	s_add_i32 s5, s5, s4
	s_mul_i32 s4, s18, s6
	s_mul_i32 s6, s17, s24
	s_mul_hi_u32 s7, s16, s24
	s_add_i32 s7, s7, s6
	s_mul_i32 s6, s16, s24
	s_lshl_b64 s[4:5], s[4:5], 4
	s_lshl_b64 s[6:7], s[6:7], 4
	s_add_u32 s6, s4, s6
	s_addc_u32 s7, s5, s7
	s_lshl_b64 s[4:5], s[14:15], 4
	s_add_u32 s4, s6, s4
	s_addc_u32 s5, s7, s5
	s_add_u32 s4, s12, s4
	v_lshlrev_b32_e32 v3, 4, v0
	s_addc_u32 s5, s13, s5
	v_lshrrev_b32_e32 v2, 2, v0
	v_mov_b32_e32 v4, s5
	v_add_co_u32_e32 v3, vcc, s4, v3
	v_addc_co_u32_e32 v4, vcc, 0, v4, vcc
	v_or_b32_e32 v16, 0x8000, v2
	v_mbcnt_lo_u32_b32 v2, -1, 0
	v_add_co_u32_e32 v6, vcc, 8, v3
	s_lshl_b64 s[6:7], s[16:17], 10
	v_mov_b32_e32 v8, s10
	v_mbcnt_hi_u32_b32 v18, -1, v2
	v_mov_b32_e32 v2, 0x80
	v_cmp_gt_i32_e64 s[2:3], s8, v0
	v_cmp_eq_u32_e64 s[26:27], 0, v0
	v_mov_b32_e32 v15, 0
	v_addc_co_u32_e32 v7, vcc, 0, v4, vcc
	v_mov_b32_e32 v17, s7
	v_mov_b32_e32 v9, s11
	v_and_b32_e32 v19, 63, v18
	v_lshl_or_b32 v20, v18, 2, v2
	s_branch .LBB20_8
.LBB20_7:                               ;   in Loop: Header=BB20_8 Depth=1
	s_or_b64 exec, exec, s[4:5]
	s_add_u32 s24, s24, 64
	s_addc_u32 s25, s25, 0
	v_cmp_ge_i64_e32 vcc, s[24:25], v[8:9]
	v_add_co_u32_e64 v6, s[4:5], s6, v6
	v_addc_co_u32_e64 v7, s[4:5], v7, v17, s[4:5]
	s_cbranch_vccnz .LBB20_23
.LBB20_8:                               ; =>This Loop Header: Depth=1
                                        ;     Child Loop BB20_10 Depth 2
                                        ;     Child Loop BB20_22 Depth 2
	v_mov_b32_e32 v4, 0
	v_mov_b32_e32 v2, 0
	;; [unrolled: 1-line block ×4, first 2 shown]
	s_and_saveexec_b64 s[10:11], s[2:3]
	s_cbranch_execz .LBB20_12
; %bb.9:                                ;   in Loop: Header=BB20_8 Depth=1
	v_mov_b32_e32 v4, 0
	v_mov_b32_e32 v11, v7
	;; [unrolled: 1-line block ×4, first 2 shown]
	s_mov_b64 s[12:13], 0
	v_mov_b32_e32 v10, v6
	v_mov_b32_e32 v12, v14
	;; [unrolled: 1-line block ×4, first 2 shown]
.LBB20_10:                              ;   Parent Loop BB20_8 Depth=1
                                        ; =>  This Inner Loop Header: Depth=2
	global_load_dwordx4 v[21:24], v[10:11], off offset:-8
	ds_read_b128 v[25:28], v12
	v_add_u32_e32 v13, 64, v13
	v_add_co_u32_e32 v10, vcc, 0x400, v10
	v_cmp_le_i32_e64 s[4:5], s8, v13
	v_add_u32_e32 v12, 0x400, v12
	s_or_b64 s[12:13], s[4:5], s[12:13]
	v_addc_co_u32_e32 v11, vcc, 0, v11, vcc
	s_waitcnt vmcnt(0) lgkmcnt(0)
	v_mul_f64 v[29:30], v[23:24], v[27:28]
	v_mul_f64 v[23:24], v[23:24], v[25:26]
	v_fma_f64 v[25:26], v[21:22], v[25:26], v[29:30]
	v_fma_f64 v[21:22], v[21:22], v[27:28], -v[23:24]
	v_add_f64 v[2:3], v[2:3], v[25:26]
	v_add_f64 v[4:5], v[4:5], v[21:22]
	s_andn2_b64 exec, exec, s[12:13]
	s_cbranch_execnz .LBB20_10
; %bb.11:                               ;   in Loop: Header=BB20_8 Depth=1
	s_or_b64 exec, exec, s[12:13]
.LBB20_12:                              ;   in Loop: Header=BB20_8 Depth=1
	s_or_b64 exec, exec, s[10:11]
	s_and_b64 vcc, exec, s[22:23]
	s_cbranch_vccz .LBB20_17
; %bb.13:                               ;   in Loop: Header=BB20_8 Depth=1
	v_cmp_ne_u32_e32 vcc, 63, v19
	v_addc_co_u32_e32 v10, vcc, 0, v18, vcc
	v_lshlrev_b32_e32 v13, 2, v10
	ds_bpermute_b32 v10, v13, v2
	ds_bpermute_b32 v11, v13, v3
	;; [unrolled: 1-line block ×4, first 2 shown]
	v_cmp_gt_u32_e32 vcc, 62, v19
	v_cndmask_b32_e64 v21, 0, 2, vcc
	s_waitcnt lgkmcnt(2)
	v_add_f64 v[10:11], v[2:3], v[10:11]
	v_add_lshl_u32 v24, v21, v18, 2
	s_waitcnt lgkmcnt(0)
	v_add_f64 v[12:13], v[4:5], v[12:13]
	v_cmp_gt_u32_e32 vcc, 60, v19
	ds_bpermute_b32 v21, v24, v10
	ds_bpermute_b32 v22, v24, v11
	ds_bpermute_b32 v23, v24, v12
	ds_bpermute_b32 v24, v24, v13
	s_waitcnt lgkmcnt(2)
	v_add_f64 v[10:11], v[10:11], v[21:22]
	v_cndmask_b32_e64 v21, 0, 4, vcc
	s_waitcnt lgkmcnt(0)
	v_add_f64 v[12:13], v[12:13], v[23:24]
	v_add_lshl_u32 v24, v21, v18, 2
	v_cmp_gt_u32_e32 vcc, 56, v19
	ds_bpermute_b32 v21, v24, v10
	ds_bpermute_b32 v22, v24, v11
	ds_bpermute_b32 v23, v24, v12
	ds_bpermute_b32 v24, v24, v13
	s_waitcnt lgkmcnt(2)
	v_add_f64 v[10:11], v[10:11], v[21:22]
	v_cndmask_b32_e64 v21, 0, 8, vcc
	s_waitcnt lgkmcnt(0)
	v_add_f64 v[12:13], v[12:13], v[23:24]
	v_add_lshl_u32 v24, v21, v18, 2
	;; [unrolled: 11-line block ×3, first 2 shown]
	ds_bpermute_b32 v21, v24, v10
	ds_bpermute_b32 v22, v24, v11
	;; [unrolled: 1-line block ×4, first 2 shown]
	s_waitcnt lgkmcnt(2)
	v_add_f64 v[10:11], v[10:11], v[21:22]
	s_waitcnt lgkmcnt(0)
	v_add_f64 v[12:13], v[12:13], v[23:24]
	ds_bpermute_b32 v21, v20, v10
	ds_bpermute_b32 v22, v20, v11
	;; [unrolled: 1-line block ×4, first 2 shown]
	s_waitcnt lgkmcnt(2)
	v_add_f64 v[10:11], v[10:11], v[21:22]
	s_waitcnt lgkmcnt(0)
	v_add_f64 v[12:13], v[12:13], v[23:24]
	s_and_saveexec_b64 s[4:5], s[26:27]
; %bb.14:                               ;   in Loop: Header=BB20_8 Depth=1
	ds_write2_b64 v16, v[10:11], v[12:13] offset1:1
; %bb.15:                               ;   in Loop: Header=BB20_8 Depth=1
	s_or_b64 exec, exec, s[4:5]
	s_waitcnt lgkmcnt(0)
	; wave barrier
	s_mov_b64 s[4:5], s[26:27]
.LBB20_16:                              ;   in Loop: Header=BB20_8 Depth=1
	v_mov_b32_e32 v4, v12
	v_mov_b32_e32 v2, v10
	;; [unrolled: 1-line block ×4, first 2 shown]
	s_and_saveexec_b64 s[10:11], s[4:5]
	s_cbranch_execnz .LBB20_19
	s_branch .LBB20_20
.LBB20_17:                              ;   in Loop: Header=BB20_8 Depth=1
	s_mov_b64 s[4:5], 0
                                        ; implicit-def: $vgpr12_vgpr13
                                        ; implicit-def: $vgpr10_vgpr11
	s_cbranch_execz .LBB20_16
; %bb.18:                               ;   in Loop: Header=BB20_8 Depth=1
	s_andn2_b64 s[4:5], s[4:5], exec
	s_and_b64 s[10:11], s[26:27], exec
	s_or_b64 s[4:5], s[4:5], s[10:11]
	s_and_saveexec_b64 s[10:11], s[4:5]
.LBB20_19:                              ;   in Loop: Header=BB20_8 Depth=1
	ds_write_b128 v15, v[2:5] offset:32768
.LBB20_20:                              ;   in Loop: Header=BB20_8 Depth=1
	s_or_b64 exec, exec, s[10:11]
	s_waitcnt lgkmcnt(0)
	; wave barrier
	s_and_saveexec_b64 s[4:5], s[0:1]
	s_cbranch_execz .LBB20_7
; %bb.21:                               ;   in Loop: Header=BB20_8 Depth=1
	global_load_dwordx4 v[10:13], v15, s[20:21]
	ds_read_b128 v[2:5], v15 offset:32768
	s_mov_b64 s[10:11], 0
	s_waitcnt vmcnt(0) lgkmcnt(0)
	v_mul_f64 v[21:22], v[12:13], v[4:5]
	v_mul_f64 v[12:13], v[12:13], v[2:3]
	v_fma_f64 v[2:3], v[2:3], -v[10:11], -v[21:22]
	v_fma_f64 v[4:5], v[10:11], v[4:5], -v[12:13]
	v_mov_b32_e32 v11, v7
	v_mov_b32_e32 v13, v1
	;; [unrolled: 1-line block ×5, first 2 shown]
.LBB20_22:                              ;   Parent Loop BB20_8 Depth=1
                                        ; =>  This Inner Loop Header: Depth=2
	global_load_dwordx4 v[22:25], v[10:11], off offset:-8
	ds_read_b128 v[26:29], v21
	v_add_co_u32_e32 v12, vcc, 64, v12
	v_addc_co_u32_e32 v13, vcc, 0, v13, vcc
	s_waitcnt lgkmcnt(0)
	v_mul_f64 v[30:31], v[4:5], v[28:29]
	v_mul_f64 v[28:29], v[2:3], v[28:29]
	v_cmp_le_i64_e32 vcc, s[8:9], v[12:13]
	v_add_u32_e32 v21, 0x400, v21
	s_or_b64 s[10:11], vcc, s[10:11]
	v_fma_f64 v[30:31], v[2:3], v[26:27], -v[30:31]
	v_fma_f64 v[26:27], v[4:5], v[26:27], v[28:29]
	s_waitcnt vmcnt(0)
	v_add_f64 v[22:23], v[22:23], v[30:31]
	v_add_f64 v[24:25], v[26:27], v[24:25]
	global_store_dwordx4 v[10:11], v[22:25], off offset:-8
	v_add_co_u32_e32 v10, vcc, 0x400, v10
	v_addc_co_u32_e32 v11, vcc, 0, v11, vcc
	s_andn2_b64 exec, exec, s[10:11]
	s_cbranch_execnz .LBB20_22
	s_branch .LBB20_7
.LBB20_23:
	s_endpgm
	.section	.rodata,"a",@progbits
	.p2align	6, 0x0
	.amdhsa_kernel _ZN9rocsolver6v33100L22larf_left_kernel_smallILi64E19rocblas_complex_numIdElPS3_EEvT1_S5_T2_lS5_lPKT0_lS6_lS5_l
		.amdhsa_group_segment_fixed_size 33792
		.amdhsa_private_segment_fixed_size 0
		.amdhsa_kernarg_size 96
		.amdhsa_user_sgpr_count 6
		.amdhsa_user_sgpr_private_segment_buffer 1
		.amdhsa_user_sgpr_dispatch_ptr 0
		.amdhsa_user_sgpr_queue_ptr 0
		.amdhsa_user_sgpr_kernarg_segment_ptr 1
		.amdhsa_user_sgpr_dispatch_id 0
		.amdhsa_user_sgpr_flat_scratch_init 0
		.amdhsa_user_sgpr_private_segment_size 0
		.amdhsa_uses_dynamic_stack 0
		.amdhsa_system_sgpr_private_segment_wavefront_offset 0
		.amdhsa_system_sgpr_workgroup_id_x 1
		.amdhsa_system_sgpr_workgroup_id_y 1
		.amdhsa_system_sgpr_workgroup_id_z 0
		.amdhsa_system_sgpr_workgroup_info 0
		.amdhsa_system_vgpr_workitem_id 0
		.amdhsa_next_free_vgpr 129
		.amdhsa_next_free_sgpr 98
		.amdhsa_reserve_vcc 1
		.amdhsa_reserve_flat_scratch 0
		.amdhsa_float_round_mode_32 0
		.amdhsa_float_round_mode_16_64 0
		.amdhsa_float_denorm_mode_32 3
		.amdhsa_float_denorm_mode_16_64 3
		.amdhsa_dx10_clamp 1
		.amdhsa_ieee_mode 1
		.amdhsa_fp16_overflow 0
		.amdhsa_exception_fp_ieee_invalid_op 0
		.amdhsa_exception_fp_denorm_src 0
		.amdhsa_exception_fp_ieee_div_zero 0
		.amdhsa_exception_fp_ieee_overflow 0
		.amdhsa_exception_fp_ieee_underflow 0
		.amdhsa_exception_fp_ieee_inexact 0
		.amdhsa_exception_int_div_zero 0
	.end_amdhsa_kernel
	.section	.text._ZN9rocsolver6v33100L22larf_left_kernel_smallILi64E19rocblas_complex_numIdElPS3_EEvT1_S5_T2_lS5_lPKT0_lS6_lS5_l,"axG",@progbits,_ZN9rocsolver6v33100L22larf_left_kernel_smallILi64E19rocblas_complex_numIdElPS3_EEvT1_S5_T2_lS5_lPKT0_lS6_lS5_l,comdat
.Lfunc_end20:
	.size	_ZN9rocsolver6v33100L22larf_left_kernel_smallILi64E19rocblas_complex_numIdElPS3_EEvT1_S5_T2_lS5_lPKT0_lS6_lS5_l, .Lfunc_end20-_ZN9rocsolver6v33100L22larf_left_kernel_smallILi64E19rocblas_complex_numIdElPS3_EEvT1_S5_T2_lS5_lPKT0_lS6_lS5_l
                                        ; -- End function
	.set _ZN9rocsolver6v33100L22larf_left_kernel_smallILi64E19rocblas_complex_numIdElPS3_EEvT1_S5_T2_lS5_lPKT0_lS6_lS5_l.num_vgpr, 32
	.set _ZN9rocsolver6v33100L22larf_left_kernel_smallILi64E19rocblas_complex_numIdElPS3_EEvT1_S5_T2_lS5_lPKT0_lS6_lS5_l.num_agpr, 0
	.set _ZN9rocsolver6v33100L22larf_left_kernel_smallILi64E19rocblas_complex_numIdElPS3_EEvT1_S5_T2_lS5_lPKT0_lS6_lS5_l.numbered_sgpr, 30
	.set _ZN9rocsolver6v33100L22larf_left_kernel_smallILi64E19rocblas_complex_numIdElPS3_EEvT1_S5_T2_lS5_lPKT0_lS6_lS5_l.num_named_barrier, 0
	.set _ZN9rocsolver6v33100L22larf_left_kernel_smallILi64E19rocblas_complex_numIdElPS3_EEvT1_S5_T2_lS5_lPKT0_lS6_lS5_l.private_seg_size, 0
	.set _ZN9rocsolver6v33100L22larf_left_kernel_smallILi64E19rocblas_complex_numIdElPS3_EEvT1_S5_T2_lS5_lPKT0_lS6_lS5_l.uses_vcc, 1
	.set _ZN9rocsolver6v33100L22larf_left_kernel_smallILi64E19rocblas_complex_numIdElPS3_EEvT1_S5_T2_lS5_lPKT0_lS6_lS5_l.uses_flat_scratch, 0
	.set _ZN9rocsolver6v33100L22larf_left_kernel_smallILi64E19rocblas_complex_numIdElPS3_EEvT1_S5_T2_lS5_lPKT0_lS6_lS5_l.has_dyn_sized_stack, 0
	.set _ZN9rocsolver6v33100L22larf_left_kernel_smallILi64E19rocblas_complex_numIdElPS3_EEvT1_S5_T2_lS5_lPKT0_lS6_lS5_l.has_recursion, 0
	.set _ZN9rocsolver6v33100L22larf_left_kernel_smallILi64E19rocblas_complex_numIdElPS3_EEvT1_S5_T2_lS5_lPKT0_lS6_lS5_l.has_indirect_call, 0
	.section	.AMDGPU.csdata,"",@progbits
; Kernel info:
; codeLenInByte = 1480
; TotalNumSgprs: 34
; NumVgprs: 32
; ScratchSize: 0
; MemoryBound: 0
; FloatMode: 240
; IeeeMode: 1
; LDSByteSize: 33792 bytes/workgroup (compile time only)
; SGPRBlocks: 12
; VGPRBlocks: 32
; NumSGPRsForWavesPerEU: 102
; NumVGPRsForWavesPerEU: 129
; Occupancy: 1
; WaveLimiterHint : 0
; COMPUTE_PGM_RSRC2:SCRATCH_EN: 0
; COMPUTE_PGM_RSRC2:USER_SGPR: 6
; COMPUTE_PGM_RSRC2:TRAP_HANDLER: 0
; COMPUTE_PGM_RSRC2:TGID_X_EN: 1
; COMPUTE_PGM_RSRC2:TGID_Y_EN: 1
; COMPUTE_PGM_RSRC2:TGID_Z_EN: 0
; COMPUTE_PGM_RSRC2:TIDIG_COMP_CNT: 0
	.section	.text._ZN9rocsolver6v33100L22larf_left_kernel_smallILi128E19rocblas_complex_numIdElPS3_EEvT1_S5_T2_lS5_lPKT0_lS6_lS5_l,"axG",@progbits,_ZN9rocsolver6v33100L22larf_left_kernel_smallILi128E19rocblas_complex_numIdElPS3_EEvT1_S5_T2_lS5_lPKT0_lS6_lS5_l,comdat
	.globl	_ZN9rocsolver6v33100L22larf_left_kernel_smallILi128E19rocblas_complex_numIdElPS3_EEvT1_S5_T2_lS5_lPKT0_lS6_lS5_l ; -- Begin function _ZN9rocsolver6v33100L22larf_left_kernel_smallILi128E19rocblas_complex_numIdElPS3_EEvT1_S5_T2_lS5_lPKT0_lS6_lS5_l
	.p2align	8
	.type	_ZN9rocsolver6v33100L22larf_left_kernel_smallILi128E19rocblas_complex_numIdElPS3_EEvT1_S5_T2_lS5_lPKT0_lS6_lS5_l,@function
_ZN9rocsolver6v33100L22larf_left_kernel_smallILi128E19rocblas_complex_numIdElPS3_EEvT1_S5_T2_lS5_lPKT0_lS6_lS5_l: ; @_ZN9rocsolver6v33100L22larf_left_kernel_smallILi128E19rocblas_complex_numIdElPS3_EEvT1_S5_T2_lS5_lPKT0_lS6_lS5_l
; %bb.0:
	s_load_dwordx16 s[12:27], s[4:5], 0x0
	s_mov_b32 s10, s7
	s_mov_b64 s[2:3], 0
	s_waitcnt lgkmcnt(0)
	v_cmp_gt_i64_e64 s[0:1], s[20:21], 0
	s_and_b64 vcc, exec, s[0:1]
	s_cbranch_vccnz .LBB21_2
; %bb.1:
	s_sub_u32 s0, 1, s12
	s_subb_u32 s1, 0, s13
	s_mul_i32 s1, s20, s1
	s_mul_hi_u32 s2, s20, s0
	s_add_i32 s1, s2, s1
	s_mul_i32 s2, s21, s0
	s_add_i32 s3, s1, s2
	s_mul_i32 s2, s20, s0
.LBB21_2:
	v_mov_b32_e32 v1, 0
	v_cmp_gt_i64_e64 s[0:1], s[12:13], v[0:1]
	v_lshlrev_b32_e32 v18, 4, v0
	s_and_saveexec_b64 s[8:9], s[0:1]
	s_cbranch_execz .LBB21_5
; %bb.3:
	v_mad_u64_u32 v[2:3], s[28:29], s20, v0, 0
	s_mul_i32 s7, s23, s6
	s_mul_hi_u32 s11, s22, s6
	s_add_i32 s23, s11, s7
	s_mul_i32 s22, s22, s6
	s_lshl_b64 s[22:23], s[22:23], 4
	s_lshl_b64 s[2:3], s[2:3], 4
	;; [unrolled: 1-line block ×3, first 2 shown]
	v_mad_u64_u32 v[3:4], s[28:29], s21, v0, v[3:4]
	s_add_u32 s7, s16, s18
	s_addc_u32 s11, s17, s19
	s_add_u32 s2, s7, s2
	s_addc_u32 s3, s11, s3
	v_lshlrev_b64 v[2:3], 4, v[2:3]
	s_add_u32 s2, s2, s22
	s_addc_u32 s3, s3, s23
	v_mov_b32_e32 v4, s3
	v_add_co_u32_e32 v2, vcc, s2, v2
	v_addc_co_u32_e32 v3, vcc, v4, v3, vcc
	s_lshl_b64 s[16:17], s[20:21], 11
	v_mov_b32_e32 v5, v1
	v_lshlrev_b32_e32 v6, 4, v0
	s_mov_b64 s[18:19], 0
	v_mov_b32_e32 v7, s17
	v_mov_b32_e32 v4, v0
.LBB21_4:                               ; =>This Inner Loop Header: Depth=1
	global_load_dwordx4 v[8:11], v[2:3], off
	v_add_co_u32_e32 v4, vcc, 0x80, v4
	v_addc_co_u32_e32 v5, vcc, 0, v5, vcc
	v_cmp_le_i64_e32 vcc, s[12:13], v[4:5]
	v_add_co_u32_e64 v2, s[2:3], s16, v2
	v_addc_co_u32_e64 v3, s[2:3], v3, v7, s[2:3]
	s_or_b64 s[18:19], vcc, s[18:19]
	s_waitcnt vmcnt(0)
	ds_write2_b64 v6, v[8:9], v[10:11] offset1:1
	v_add_u32_e32 v6, 0x800, v6
	s_andn2_b64 exec, exec, s[18:19]
	s_cbranch_execnz .LBB21_4
.LBB21_5:
	s_or_b64 exec, exec, s[8:9]
	s_mov_b32 s11, 0
	v_mov_b32_e32 v2, s10
	v_mov_b32_e32 v3, s11
	v_cmp_le_i64_e32 vcc, s[14:15], v[2:3]
	s_waitcnt lgkmcnt(0)
	s_barrier
	s_cbranch_vccnz .LBB21_25
; %bb.6:
	s_load_dwordx8 s[16:23], s[4:5], 0x40
	s_mul_i32 s2, s27, s6
	s_mul_hi_u32 s3, s26, s6
	s_add_i32 s3, s3, s2
	s_mul_i32 s2, s26, s6
	s_lshl_b64 s[2:3], s[2:3], 4
	s_add_u32 s24, s24, s2
	s_addc_u32 s25, s25, s3
	s_cmp_gt_i32 s12, 1
	s_waitcnt lgkmcnt(0)
	s_mul_i32 s7, s23, s6
	s_mul_hi_u32 s23, s22, s6
	s_cselect_b64 s[26:27], -1, 0
	s_add_i32 s7, s23, s7
	s_mul_i32 s6, s22, s6
	s_mul_i32 s22, s21, s10
	s_mul_hi_u32 s23, s20, s10
	s_add_i32 s23, s23, s22
	s_mul_i32 s22, s20, s10
	s_lshl_b64 s[6:7], s[6:7], 4
	s_lshl_b64 s[22:23], s[22:23], 4
	s_add_u32 s22, s6, s22
	s_addc_u32 s23, s7, s23
	s_lshl_b64 s[6:7], s[18:19], 4
	s_add_u32 s6, s22, s6
	s_addc_u32 s7, s23, s7
	s_add_u32 s6, s16, s6
	v_and_b32_e32 v2, 63, v0
	v_lshlrev_b32_e32 v3, 4, v0
	s_addc_u32 s7, s17, s7
	v_cmp_eq_u32_e64 s[4:5], 0, v2
	v_lshrrev_b32_e32 v2, 2, v0
	v_mov_b32_e32 v4, s7
	v_add_co_u32_e32 v3, vcc, s6, v3
	v_addc_co_u32_e32 v4, vcc, 0, v4, vcc
	v_or_b32_e32 v20, 0x8000, v2
	v_mbcnt_lo_u32_b32 v2, -1, 0
	v_add_co_u32_e32 v6, vcc, 8, v3
	s_lshl_b64 s[16:17], s[20:21], 10
	v_mov_b32_e32 v8, s14
	v_mbcnt_hi_u32_b32 v22, -1, v2
	v_mov_b32_e32 v2, 0x80
	v_cmp_gt_i32_e64 s[2:3], s12, v0
	v_cmp_eq_u32_e64 s[8:9], 0, v0
	v_mov_b32_e32 v19, 0
	v_addc_co_u32_e32 v7, vcc, 0, v4, vcc
	s_movk_i32 s20, 0x80
	v_mov_b32_e32 v21, s17
	v_mov_b32_e32 v9, s15
	v_and_b32_e32 v23, 63, v22
	v_lshl_or_b32 v24, v22, 2, v2
	s_branch .LBB21_8
.LBB21_7:                               ;   in Loop: Header=BB21_8 Depth=1
	s_or_b64 exec, exec, s[6:7]
	s_add_u32 s10, s10, 64
	s_addc_u32 s11, s11, 0
	v_cmp_ge_i64_e32 vcc, s[10:11], v[8:9]
	v_add_co_u32_e64 v6, s[6:7], s16, v6
	v_addc_co_u32_e64 v7, s[6:7], v7, v21, s[6:7]
	s_cbranch_vccnz .LBB21_25
.LBB21_8:                               ; =>This Loop Header: Depth=1
                                        ;     Child Loop BB21_10 Depth 2
                                        ;     Child Loop BB21_24 Depth 2
	v_mov_b32_e32 v4, 0
	v_mov_b32_e32 v2, 0
	;; [unrolled: 1-line block ×4, first 2 shown]
	s_and_saveexec_b64 s[14:15], s[2:3]
	s_cbranch_execz .LBB21_12
; %bb.9:                                ;   in Loop: Header=BB21_8 Depth=1
	v_mov_b32_e32 v4, 0
	v_mov_b32_e32 v11, v7
	;; [unrolled: 1-line block ×4, first 2 shown]
	s_mov_b64 s[18:19], 0
	v_mov_b32_e32 v10, v6
	v_mov_b32_e32 v12, v18
	;; [unrolled: 1-line block ×4, first 2 shown]
.LBB21_10:                              ;   Parent Loop BB21_8 Depth=1
                                        ; =>  This Inner Loop Header: Depth=2
	global_load_dwordx4 v[14:17], v[10:11], off offset:-8
	ds_read_b128 v[25:28], v12
	v_add_u32_e32 v13, 0x80, v13
	v_add_co_u32_e32 v10, vcc, 0x800, v10
	v_cmp_le_i32_e64 s[6:7], s12, v13
	v_add_u32_e32 v12, 0x800, v12
	s_or_b64 s[18:19], s[6:7], s[18:19]
	v_addc_co_u32_e32 v11, vcc, 0, v11, vcc
	s_waitcnt vmcnt(0) lgkmcnt(0)
	v_mul_f64 v[29:30], v[16:17], v[27:28]
	v_mul_f64 v[16:17], v[16:17], v[25:26]
	v_fma_f64 v[25:26], v[14:15], v[25:26], v[29:30]
	v_fma_f64 v[14:15], v[14:15], v[27:28], -v[16:17]
	v_add_f64 v[2:3], v[2:3], v[25:26]
	v_add_f64 v[4:5], v[4:5], v[14:15]
	s_andn2_b64 exec, exec, s[18:19]
	s_cbranch_execnz .LBB21_10
; %bb.11:                               ;   in Loop: Header=BB21_8 Depth=1
	s_or_b64 exec, exec, s[18:19]
.LBB21_12:                              ;   in Loop: Header=BB21_8 Depth=1
	s_or_b64 exec, exec, s[14:15]
	s_and_b64 vcc, exec, s[26:27]
	s_cbranch_vccz .LBB21_19
; %bb.13:                               ;   in Loop: Header=BB21_8 Depth=1
	v_cmp_ne_u32_e32 vcc, 63, v23
	v_addc_co_u32_e32 v10, vcc, 0, v22, vcc
	v_lshlrev_b32_e32 v13, 2, v10
	ds_bpermute_b32 v10, v13, v2
	ds_bpermute_b32 v11, v13, v3
	;; [unrolled: 1-line block ×4, first 2 shown]
	v_cmp_gt_u32_e32 vcc, 62, v23
	v_cndmask_b32_e64 v14, 0, 2, vcc
	s_waitcnt lgkmcnt(2)
	v_add_f64 v[10:11], v[2:3], v[10:11]
	v_add_lshl_u32 v17, v14, v22, 2
	s_waitcnt lgkmcnt(0)
	v_add_f64 v[12:13], v[4:5], v[12:13]
	v_cmp_gt_u32_e32 vcc, 60, v23
	ds_bpermute_b32 v14, v17, v10
	ds_bpermute_b32 v15, v17, v11
	ds_bpermute_b32 v16, v17, v12
	ds_bpermute_b32 v17, v17, v13
	s_waitcnt lgkmcnt(2)
	v_add_f64 v[10:11], v[10:11], v[14:15]
	v_cndmask_b32_e64 v14, 0, 4, vcc
	s_waitcnt lgkmcnt(0)
	v_add_f64 v[12:13], v[12:13], v[16:17]
	v_add_lshl_u32 v17, v14, v22, 2
	v_cmp_gt_u32_e32 vcc, 56, v23
	ds_bpermute_b32 v14, v17, v10
	ds_bpermute_b32 v15, v17, v11
	ds_bpermute_b32 v16, v17, v12
	ds_bpermute_b32 v17, v17, v13
	s_waitcnt lgkmcnt(2)
	v_add_f64 v[10:11], v[10:11], v[14:15]
	v_cndmask_b32_e64 v14, 0, 8, vcc
	s_waitcnt lgkmcnt(0)
	v_add_f64 v[12:13], v[12:13], v[16:17]
	v_add_lshl_u32 v17, v14, v22, 2
	;; [unrolled: 11-line block ×3, first 2 shown]
	ds_bpermute_b32 v14, v17, v10
	ds_bpermute_b32 v15, v17, v11
	;; [unrolled: 1-line block ×4, first 2 shown]
	s_waitcnt lgkmcnt(2)
	v_add_f64 v[10:11], v[10:11], v[14:15]
	s_waitcnt lgkmcnt(0)
	v_add_f64 v[14:15], v[12:13], v[16:17]
	ds_bpermute_b32 v12, v24, v10
	ds_bpermute_b32 v13, v24, v11
	;; [unrolled: 1-line block ×4, first 2 shown]
	s_waitcnt lgkmcnt(2)
	v_add_f64 v[12:13], v[10:11], v[12:13]
	s_waitcnt lgkmcnt(0)
	v_add_f64 v[16:17], v[14:15], v[16:17]
	s_and_saveexec_b64 s[6:7], s[4:5]
; %bb.14:                               ;   in Loop: Header=BB21_8 Depth=1
	ds_write2_b64 v20, v[12:13], v[16:17] offset1:1
; %bb.15:                               ;   in Loop: Header=BB21_8 Depth=1
	s_or_b64 exec, exec, s[6:7]
	s_mov_b64 s[14:15], 0
	s_mov_b64 s[6:7], 0
	s_waitcnt vmcnt(0) lgkmcnt(0)
	s_barrier
                                        ; implicit-def: $vgpr10_vgpr11
                                        ; implicit-def: $vgpr14_vgpr15
	s_and_saveexec_b64 s[18:19], s[8:9]
	s_xor_b64 s[18:19], exec, s[18:19]
	s_cbranch_execz .LBB21_17
; %bb.16:                               ;   in Loop: Header=BB21_8 Depth=1
	ds_read_b128 v[25:28], v19 offset:32784
	s_mov_b64 s[6:7], exec
	s_waitcnt lgkmcnt(0)
	v_add_f64 v[10:11], v[16:17], v[27:28]
	v_add_f64 v[14:15], v[12:13], v[25:26]
.LBB21_17:                              ;   in Loop: Header=BB21_8 Depth=1
	s_or_b64 exec, exec, s[18:19]
	s_and_b64 vcc, exec, s[14:15]
	s_cbranch_vccnz .LBB21_20
.LBB21_18:                              ;   in Loop: Header=BB21_8 Depth=1
	v_mov_b32_e32 v4, v10
	v_mov_b32_e32 v2, v14
	;; [unrolled: 1-line block ×4, first 2 shown]
	s_and_saveexec_b64 s[14:15], s[6:7]
	s_cbranch_execnz .LBB21_21
	s_branch .LBB21_22
.LBB21_19:                              ;   in Loop: Header=BB21_8 Depth=1
	s_mov_b64 s[6:7], 0
                                        ; implicit-def: $vgpr10_vgpr11
                                        ; implicit-def: $vgpr14_vgpr15
	s_cbranch_execz .LBB21_18
.LBB21_20:                              ;   in Loop: Header=BB21_8 Depth=1
	s_andn2_b64 s[6:7], s[6:7], exec
	s_and_b64 s[14:15], s[8:9], exec
	s_or_b64 s[6:7], s[6:7], s[14:15]
	s_and_saveexec_b64 s[14:15], s[6:7]
.LBB21_21:                              ;   in Loop: Header=BB21_8 Depth=1
	ds_write_b128 v19, v[2:5] offset:32768
.LBB21_22:                              ;   in Loop: Header=BB21_8 Depth=1
	s_or_b64 exec, exec, s[14:15]
	s_waitcnt vmcnt(0) lgkmcnt(0)
	s_barrier
	s_and_saveexec_b64 s[6:7], s[0:1]
	s_cbranch_execz .LBB21_7
; %bb.23:                               ;   in Loop: Header=BB21_8 Depth=1
	global_load_dwordx4 v[10:13], v19, s[24:25]
	ds_read_b128 v[2:5], v19 offset:32768
	s_mov_b64 s[14:15], 0
	s_waitcnt vmcnt(0) lgkmcnt(0)
	v_mul_f64 v[14:15], v[12:13], v[4:5]
	v_mul_f64 v[12:13], v[12:13], v[2:3]
	v_fma_f64 v[2:3], v[2:3], -v[10:11], -v[14:15]
	v_fma_f64 v[4:5], v[10:11], v[4:5], -v[12:13]
	v_mov_b32_e32 v11, v7
	v_mov_b32_e32 v13, v1
	;; [unrolled: 1-line block ×5, first 2 shown]
.LBB21_24:                              ;   Parent Loop BB21_8 Depth=1
                                        ; =>  This Inner Loop Header: Depth=2
	global_load_dwordx4 v[25:28], v[10:11], off offset:-8
	ds_read_b128 v[29:32], v14
	v_add_co_u32_e32 v12, vcc, s20, v12
	v_addc_co_u32_e32 v13, vcc, 0, v13, vcc
	s_waitcnt lgkmcnt(0)
	v_mul_f64 v[15:16], v[4:5], v[31:32]
	v_mul_f64 v[31:32], v[2:3], v[31:32]
	v_cmp_le_i64_e32 vcc, s[12:13], v[12:13]
	v_add_u32_e32 v14, 0x800, v14
	s_or_b64 s[14:15], vcc, s[14:15]
	v_fma_f64 v[15:16], v[2:3], v[29:30], -v[15:16]
	v_fma_f64 v[29:30], v[4:5], v[29:30], v[31:32]
	s_waitcnt vmcnt(0)
	v_add_f64 v[25:26], v[25:26], v[15:16]
	v_add_f64 v[27:28], v[29:30], v[27:28]
	global_store_dwordx4 v[10:11], v[25:28], off offset:-8
	v_add_co_u32_e32 v10, vcc, 0x800, v10
	v_addc_co_u32_e32 v11, vcc, 0, v11, vcc
	s_andn2_b64 exec, exec, s[14:15]
	s_cbranch_execnz .LBB21_24
	s_branch .LBB21_7
.LBB21_25:
	s_endpgm
	.section	.rodata,"a",@progbits
	.p2align	6, 0x0
	.amdhsa_kernel _ZN9rocsolver6v33100L22larf_left_kernel_smallILi128E19rocblas_complex_numIdElPS3_EEvT1_S5_T2_lS5_lPKT0_lS6_lS5_l
		.amdhsa_group_segment_fixed_size 34816
		.amdhsa_private_segment_fixed_size 0
		.amdhsa_kernarg_size 96
		.amdhsa_user_sgpr_count 6
		.amdhsa_user_sgpr_private_segment_buffer 1
		.amdhsa_user_sgpr_dispatch_ptr 0
		.amdhsa_user_sgpr_queue_ptr 0
		.amdhsa_user_sgpr_kernarg_segment_ptr 1
		.amdhsa_user_sgpr_dispatch_id 0
		.amdhsa_user_sgpr_flat_scratch_init 0
		.amdhsa_user_sgpr_private_segment_size 0
		.amdhsa_uses_dynamic_stack 0
		.amdhsa_system_sgpr_private_segment_wavefront_offset 0
		.amdhsa_system_sgpr_workgroup_id_x 1
		.amdhsa_system_sgpr_workgroup_id_y 1
		.amdhsa_system_sgpr_workgroup_id_z 0
		.amdhsa_system_sgpr_workgroup_info 0
		.amdhsa_system_vgpr_workitem_id 0
		.amdhsa_next_free_vgpr 129
		.amdhsa_next_free_sgpr 98
		.amdhsa_reserve_vcc 1
		.amdhsa_reserve_flat_scratch 0
		.amdhsa_float_round_mode_32 0
		.amdhsa_float_round_mode_16_64 0
		.amdhsa_float_denorm_mode_32 3
		.amdhsa_float_denorm_mode_16_64 3
		.amdhsa_dx10_clamp 1
		.amdhsa_ieee_mode 1
		.amdhsa_fp16_overflow 0
		.amdhsa_exception_fp_ieee_invalid_op 0
		.amdhsa_exception_fp_denorm_src 0
		.amdhsa_exception_fp_ieee_div_zero 0
		.amdhsa_exception_fp_ieee_overflow 0
		.amdhsa_exception_fp_ieee_underflow 0
		.amdhsa_exception_fp_ieee_inexact 0
		.amdhsa_exception_int_div_zero 0
	.end_amdhsa_kernel
	.section	.text._ZN9rocsolver6v33100L22larf_left_kernel_smallILi128E19rocblas_complex_numIdElPS3_EEvT1_S5_T2_lS5_lPKT0_lS6_lS5_l,"axG",@progbits,_ZN9rocsolver6v33100L22larf_left_kernel_smallILi128E19rocblas_complex_numIdElPS3_EEvT1_S5_T2_lS5_lPKT0_lS6_lS5_l,comdat
.Lfunc_end21:
	.size	_ZN9rocsolver6v33100L22larf_left_kernel_smallILi128E19rocblas_complex_numIdElPS3_EEvT1_S5_T2_lS5_lPKT0_lS6_lS5_l, .Lfunc_end21-_ZN9rocsolver6v33100L22larf_left_kernel_smallILi128E19rocblas_complex_numIdElPS3_EEvT1_S5_T2_lS5_lPKT0_lS6_lS5_l
                                        ; -- End function
	.set _ZN9rocsolver6v33100L22larf_left_kernel_smallILi128E19rocblas_complex_numIdElPS3_EEvT1_S5_T2_lS5_lPKT0_lS6_lS5_l.num_vgpr, 33
	.set _ZN9rocsolver6v33100L22larf_left_kernel_smallILi128E19rocblas_complex_numIdElPS3_EEvT1_S5_T2_lS5_lPKT0_lS6_lS5_l.num_agpr, 0
	.set _ZN9rocsolver6v33100L22larf_left_kernel_smallILi128E19rocblas_complex_numIdElPS3_EEvT1_S5_T2_lS5_lPKT0_lS6_lS5_l.numbered_sgpr, 30
	.set _ZN9rocsolver6v33100L22larf_left_kernel_smallILi128E19rocblas_complex_numIdElPS3_EEvT1_S5_T2_lS5_lPKT0_lS6_lS5_l.num_named_barrier, 0
	.set _ZN9rocsolver6v33100L22larf_left_kernel_smallILi128E19rocblas_complex_numIdElPS3_EEvT1_S5_T2_lS5_lPKT0_lS6_lS5_l.private_seg_size, 0
	.set _ZN9rocsolver6v33100L22larf_left_kernel_smallILi128E19rocblas_complex_numIdElPS3_EEvT1_S5_T2_lS5_lPKT0_lS6_lS5_l.uses_vcc, 1
	.set _ZN9rocsolver6v33100L22larf_left_kernel_smallILi128E19rocblas_complex_numIdElPS3_EEvT1_S5_T2_lS5_lPKT0_lS6_lS5_l.uses_flat_scratch, 0
	.set _ZN9rocsolver6v33100L22larf_left_kernel_smallILi128E19rocblas_complex_numIdElPS3_EEvT1_S5_T2_lS5_lPKT0_lS6_lS5_l.has_dyn_sized_stack, 0
	.set _ZN9rocsolver6v33100L22larf_left_kernel_smallILi128E19rocblas_complex_numIdElPS3_EEvT1_S5_T2_lS5_lPKT0_lS6_lS5_l.has_recursion, 0
	.set _ZN9rocsolver6v33100L22larf_left_kernel_smallILi128E19rocblas_complex_numIdElPS3_EEvT1_S5_T2_lS5_lPKT0_lS6_lS5_l.has_indirect_call, 0
	.section	.AMDGPU.csdata,"",@progbits
; Kernel info:
; codeLenInByte = 1584
; TotalNumSgprs: 34
; NumVgprs: 33
; ScratchSize: 0
; MemoryBound: 0
; FloatMode: 240
; IeeeMode: 1
; LDSByteSize: 34816 bytes/workgroup (compile time only)
; SGPRBlocks: 12
; VGPRBlocks: 32
; NumSGPRsForWavesPerEU: 102
; NumVGPRsForWavesPerEU: 129
; Occupancy: 1
; WaveLimiterHint : 0
; COMPUTE_PGM_RSRC2:SCRATCH_EN: 0
; COMPUTE_PGM_RSRC2:USER_SGPR: 6
; COMPUTE_PGM_RSRC2:TRAP_HANDLER: 0
; COMPUTE_PGM_RSRC2:TGID_X_EN: 1
; COMPUTE_PGM_RSRC2:TGID_Y_EN: 1
; COMPUTE_PGM_RSRC2:TGID_Z_EN: 0
; COMPUTE_PGM_RSRC2:TIDIG_COMP_CNT: 0
	.section	.text._ZN9rocsolver6v33100L22larf_left_kernel_smallILi256E19rocblas_complex_numIdElPS3_EEvT1_S5_T2_lS5_lPKT0_lS6_lS5_l,"axG",@progbits,_ZN9rocsolver6v33100L22larf_left_kernel_smallILi256E19rocblas_complex_numIdElPS3_EEvT1_S5_T2_lS5_lPKT0_lS6_lS5_l,comdat
	.globl	_ZN9rocsolver6v33100L22larf_left_kernel_smallILi256E19rocblas_complex_numIdElPS3_EEvT1_S5_T2_lS5_lPKT0_lS6_lS5_l ; -- Begin function _ZN9rocsolver6v33100L22larf_left_kernel_smallILi256E19rocblas_complex_numIdElPS3_EEvT1_S5_T2_lS5_lPKT0_lS6_lS5_l
	.p2align	8
	.type	_ZN9rocsolver6v33100L22larf_left_kernel_smallILi256E19rocblas_complex_numIdElPS3_EEvT1_S5_T2_lS5_lPKT0_lS6_lS5_l,@function
_ZN9rocsolver6v33100L22larf_left_kernel_smallILi256E19rocblas_complex_numIdElPS3_EEvT1_S5_T2_lS5_lPKT0_lS6_lS5_l: ; @_ZN9rocsolver6v33100L22larf_left_kernel_smallILi256E19rocblas_complex_numIdElPS3_EEvT1_S5_T2_lS5_lPKT0_lS6_lS5_l
; %bb.0:
	s_load_dwordx16 s[12:27], s[4:5], 0x0
	s_mov_b32 s10, s7
	s_mov_b64 s[2:3], 0
	s_waitcnt lgkmcnt(0)
	v_cmp_gt_i64_e64 s[0:1], s[20:21], 0
	s_and_b64 vcc, exec, s[0:1]
	s_cbranch_vccnz .LBB22_2
; %bb.1:
	s_sub_u32 s0, 1, s12
	s_subb_u32 s1, 0, s13
	s_mul_i32 s1, s20, s1
	s_mul_hi_u32 s2, s20, s0
	s_add_i32 s1, s2, s1
	s_mul_i32 s2, s21, s0
	s_add_i32 s3, s1, s2
	s_mul_i32 s2, s20, s0
.LBB22_2:
	v_mov_b32_e32 v1, 0
	v_cmp_gt_i64_e64 s[0:1], s[12:13], v[0:1]
	v_lshlrev_b32_e32 v18, 4, v0
	s_and_saveexec_b64 s[8:9], s[0:1]
	s_cbranch_execz .LBB22_5
; %bb.3:
	v_mad_u64_u32 v[2:3], s[28:29], s20, v0, 0
	s_mul_i32 s7, s23, s6
	s_mul_hi_u32 s11, s22, s6
	s_add_i32 s23, s11, s7
	s_mul_i32 s22, s22, s6
	s_lshl_b64 s[22:23], s[22:23], 4
	s_lshl_b64 s[2:3], s[2:3], 4
	s_lshl_b64 s[18:19], s[18:19], 4
	v_mad_u64_u32 v[3:4], s[28:29], s21, v0, v[3:4]
	s_add_u32 s7, s16, s18
	s_addc_u32 s11, s17, s19
	s_add_u32 s2, s7, s2
	s_addc_u32 s3, s11, s3
	v_lshlrev_b64 v[2:3], 4, v[2:3]
	s_add_u32 s2, s2, s22
	s_addc_u32 s3, s3, s23
	v_mov_b32_e32 v4, s3
	v_add_co_u32_e32 v2, vcc, s2, v2
	v_addc_co_u32_e32 v3, vcc, v4, v3, vcc
	s_lshl_b64 s[16:17], s[20:21], 12
	v_mov_b32_e32 v5, v1
	v_lshlrev_b32_e32 v6, 4, v0
	s_mov_b64 s[18:19], 0
	v_mov_b32_e32 v7, s17
	v_mov_b32_e32 v4, v0
.LBB22_4:                               ; =>This Inner Loop Header: Depth=1
	global_load_dwordx4 v[8:11], v[2:3], off
	v_add_co_u32_e32 v4, vcc, 0x100, v4
	v_addc_co_u32_e32 v5, vcc, 0, v5, vcc
	v_cmp_le_i64_e32 vcc, s[12:13], v[4:5]
	v_add_co_u32_e64 v2, s[2:3], s16, v2
	v_addc_co_u32_e64 v3, s[2:3], v3, v7, s[2:3]
	s_or_b64 s[18:19], vcc, s[18:19]
	s_waitcnt vmcnt(0)
	ds_write2_b64 v6, v[8:9], v[10:11] offset1:1
	v_add_u32_e32 v6, 0x1000, v6
	s_andn2_b64 exec, exec, s[18:19]
	s_cbranch_execnz .LBB22_4
.LBB22_5:
	s_or_b64 exec, exec, s[8:9]
	s_mov_b32 s11, 0
	v_mov_b32_e32 v2, s10
	v_mov_b32_e32 v3, s11
	v_cmp_le_i64_e32 vcc, s[14:15], v[2:3]
	s_waitcnt lgkmcnt(0)
	s_barrier
	s_cbranch_vccnz .LBB22_25
; %bb.6:
	s_load_dwordx8 s[16:23], s[4:5], 0x40
	s_mul_i32 s2, s27, s6
	s_mul_hi_u32 s3, s26, s6
	s_add_i32 s3, s3, s2
	s_mul_i32 s2, s26, s6
	s_lshl_b64 s[2:3], s[2:3], 4
	s_add_u32 s24, s24, s2
	s_addc_u32 s25, s25, s3
	s_cmp_gt_i32 s12, 1
	s_waitcnt lgkmcnt(0)
	s_mul_i32 s7, s23, s6
	s_mul_hi_u32 s23, s22, s6
	s_cselect_b64 s[26:27], -1, 0
	s_add_i32 s7, s23, s7
	s_mul_i32 s6, s22, s6
	s_mul_i32 s22, s21, s10
	s_mul_hi_u32 s23, s20, s10
	s_add_i32 s23, s23, s22
	s_mul_i32 s22, s20, s10
	s_lshl_b64 s[6:7], s[6:7], 4
	s_lshl_b64 s[22:23], s[22:23], 4
	s_add_u32 s22, s6, s22
	s_addc_u32 s23, s7, s23
	s_lshl_b64 s[6:7], s[18:19], 4
	s_add_u32 s6, s22, s6
	s_addc_u32 s7, s23, s7
	s_add_u32 s6, s16, s6
	v_and_b32_e32 v2, 63, v0
	v_lshlrev_b32_e32 v3, 4, v0
	s_addc_u32 s7, s17, s7
	v_cmp_eq_u32_e64 s[4:5], 0, v2
	v_lshrrev_b32_e32 v2, 2, v0
	v_mov_b32_e32 v4, s7
	v_add_co_u32_e32 v3, vcc, s6, v3
	v_addc_co_u32_e32 v4, vcc, 0, v4, vcc
	v_or_b32_e32 v20, 0x8000, v2
	v_mbcnt_lo_u32_b32 v2, -1, 0
	v_add_co_u32_e32 v6, vcc, 8, v3
	s_lshl_b64 s[16:17], s[20:21], 10
	v_mov_b32_e32 v8, s14
	v_mbcnt_hi_u32_b32 v22, -1, v2
	v_mov_b32_e32 v2, 0x80
	v_cmp_gt_i32_e64 s[2:3], s12, v0
	v_cmp_eq_u32_e64 s[8:9], 0, v0
	v_mov_b32_e32 v19, 0
	v_addc_co_u32_e32 v7, vcc, 0, v4, vcc
	s_movk_i32 s20, 0x100
	v_mov_b32_e32 v21, s17
	v_mov_b32_e32 v9, s15
	v_and_b32_e32 v23, 63, v22
	v_lshl_or_b32 v24, v22, 2, v2
	s_branch .LBB22_8
.LBB22_7:                               ;   in Loop: Header=BB22_8 Depth=1
	s_or_b64 exec, exec, s[6:7]
	s_add_u32 s10, s10, 64
	s_addc_u32 s11, s11, 0
	v_cmp_ge_i64_e32 vcc, s[10:11], v[8:9]
	v_add_co_u32_e64 v6, s[6:7], s16, v6
	v_addc_co_u32_e64 v7, s[6:7], v7, v21, s[6:7]
	s_cbranch_vccnz .LBB22_25
.LBB22_8:                               ; =>This Loop Header: Depth=1
                                        ;     Child Loop BB22_10 Depth 2
                                        ;     Child Loop BB22_24 Depth 2
	v_mov_b32_e32 v4, 0
	v_mov_b32_e32 v2, 0
	;; [unrolled: 1-line block ×4, first 2 shown]
	s_and_saveexec_b64 s[14:15], s[2:3]
	s_cbranch_execz .LBB22_12
; %bb.9:                                ;   in Loop: Header=BB22_8 Depth=1
	v_mov_b32_e32 v4, 0
	v_mov_b32_e32 v11, v7
	;; [unrolled: 1-line block ×4, first 2 shown]
	s_mov_b64 s[18:19], 0
	v_mov_b32_e32 v10, v6
	v_mov_b32_e32 v12, v18
	v_mov_b32_e32 v3, 0
	v_mov_b32_e32 v13, v0
.LBB22_10:                              ;   Parent Loop BB22_8 Depth=1
                                        ; =>  This Inner Loop Header: Depth=2
	global_load_dwordx4 v[14:17], v[10:11], off offset:-8
	ds_read_b128 v[25:28], v12
	v_add_u32_e32 v13, 0x100, v13
	v_add_co_u32_e32 v10, vcc, 0x1000, v10
	v_cmp_le_i32_e64 s[6:7], s12, v13
	v_add_u32_e32 v12, 0x1000, v12
	s_or_b64 s[18:19], s[6:7], s[18:19]
	v_addc_co_u32_e32 v11, vcc, 0, v11, vcc
	s_waitcnt vmcnt(0) lgkmcnt(0)
	v_mul_f64 v[29:30], v[16:17], v[27:28]
	v_mul_f64 v[16:17], v[16:17], v[25:26]
	v_fma_f64 v[25:26], v[14:15], v[25:26], v[29:30]
	v_fma_f64 v[14:15], v[14:15], v[27:28], -v[16:17]
	v_add_f64 v[2:3], v[2:3], v[25:26]
	v_add_f64 v[4:5], v[4:5], v[14:15]
	s_andn2_b64 exec, exec, s[18:19]
	s_cbranch_execnz .LBB22_10
; %bb.11:                               ;   in Loop: Header=BB22_8 Depth=1
	s_or_b64 exec, exec, s[18:19]
.LBB22_12:                              ;   in Loop: Header=BB22_8 Depth=1
	s_or_b64 exec, exec, s[14:15]
	s_and_b64 vcc, exec, s[26:27]
	s_cbranch_vccz .LBB22_19
; %bb.13:                               ;   in Loop: Header=BB22_8 Depth=1
	v_cmp_ne_u32_e32 vcc, 63, v23
	v_addc_co_u32_e32 v10, vcc, 0, v22, vcc
	v_lshlrev_b32_e32 v13, 2, v10
	ds_bpermute_b32 v10, v13, v2
	ds_bpermute_b32 v11, v13, v3
	;; [unrolled: 1-line block ×4, first 2 shown]
	v_cmp_gt_u32_e32 vcc, 62, v23
	v_cndmask_b32_e64 v14, 0, 2, vcc
	s_waitcnt lgkmcnt(2)
	v_add_f64 v[10:11], v[2:3], v[10:11]
	v_add_lshl_u32 v17, v14, v22, 2
	s_waitcnt lgkmcnt(0)
	v_add_f64 v[12:13], v[4:5], v[12:13]
	v_cmp_gt_u32_e32 vcc, 60, v23
	ds_bpermute_b32 v14, v17, v10
	ds_bpermute_b32 v15, v17, v11
	ds_bpermute_b32 v16, v17, v12
	ds_bpermute_b32 v17, v17, v13
	s_waitcnt lgkmcnt(2)
	v_add_f64 v[10:11], v[10:11], v[14:15]
	v_cndmask_b32_e64 v14, 0, 4, vcc
	s_waitcnt lgkmcnt(0)
	v_add_f64 v[12:13], v[12:13], v[16:17]
	v_add_lshl_u32 v17, v14, v22, 2
	v_cmp_gt_u32_e32 vcc, 56, v23
	ds_bpermute_b32 v14, v17, v10
	ds_bpermute_b32 v15, v17, v11
	ds_bpermute_b32 v16, v17, v12
	ds_bpermute_b32 v17, v17, v13
	s_waitcnt lgkmcnt(2)
	v_add_f64 v[10:11], v[10:11], v[14:15]
	v_cndmask_b32_e64 v14, 0, 8, vcc
	s_waitcnt lgkmcnt(0)
	v_add_f64 v[12:13], v[12:13], v[16:17]
	v_add_lshl_u32 v17, v14, v22, 2
	v_cmp_gt_u32_e32 vcc, 48, v23
	ds_bpermute_b32 v14, v17, v10
	ds_bpermute_b32 v15, v17, v11
	ds_bpermute_b32 v16, v17, v12
	ds_bpermute_b32 v17, v17, v13
	s_waitcnt lgkmcnt(2)
	v_add_f64 v[10:11], v[10:11], v[14:15]
	v_cndmask_b32_e64 v14, 0, 16, vcc
	s_waitcnt lgkmcnt(0)
	v_add_f64 v[12:13], v[12:13], v[16:17]
	v_add_lshl_u32 v17, v14, v22, 2
	ds_bpermute_b32 v14, v17, v10
	ds_bpermute_b32 v15, v17, v11
	;; [unrolled: 1-line block ×4, first 2 shown]
	s_waitcnt lgkmcnt(2)
	v_add_f64 v[10:11], v[10:11], v[14:15]
	s_waitcnt lgkmcnt(0)
	v_add_f64 v[12:13], v[12:13], v[16:17]
	ds_bpermute_b32 v14, v24, v10
	ds_bpermute_b32 v15, v24, v11
	;; [unrolled: 1-line block ×4, first 2 shown]
	s_waitcnt lgkmcnt(2)
	v_add_f64 v[10:11], v[10:11], v[14:15]
	s_waitcnt lgkmcnt(0)
	v_add_f64 v[12:13], v[12:13], v[16:17]
	s_and_saveexec_b64 s[6:7], s[4:5]
; %bb.14:                               ;   in Loop: Header=BB22_8 Depth=1
	ds_write2_b64 v20, v[10:11], v[12:13] offset1:1
; %bb.15:                               ;   in Loop: Header=BB22_8 Depth=1
	s_or_b64 exec, exec, s[6:7]
	s_mov_b64 s[14:15], 0
	s_mov_b64 s[6:7], 0
	s_waitcnt vmcnt(0) lgkmcnt(0)
	s_barrier
                                        ; implicit-def: $vgpr14_vgpr15
                                        ; implicit-def: $vgpr16_vgpr17
	s_and_saveexec_b64 s[18:19], s[8:9]
	s_xor_b64 s[18:19], exec, s[18:19]
	s_cbranch_execz .LBB22_17
; %bb.16:                               ;   in Loop: Header=BB22_8 Depth=1
	ds_read_b128 v[14:17], v19 offset:32784
	ds_read_b128 v[25:28], v19 offset:32800
	s_mov_b64 s[6:7], exec
	s_waitcnt lgkmcnt(1)
	v_add_f64 v[10:11], v[10:11], v[14:15]
	v_add_f64 v[12:13], v[12:13], v[16:17]
	s_waitcnt lgkmcnt(0)
	v_add_f64 v[14:15], v[10:11], v[25:26]
	v_add_f64 v[25:26], v[12:13], v[27:28]
	ds_read_b128 v[10:13], v19 offset:32816
	s_waitcnt lgkmcnt(0)
	v_add_f64 v[16:17], v[14:15], v[10:11]
	v_add_f64 v[14:15], v[25:26], v[12:13]
.LBB22_17:                              ;   in Loop: Header=BB22_8 Depth=1
	s_or_b64 exec, exec, s[18:19]
	s_and_b64 vcc, exec, s[14:15]
	s_cbranch_vccnz .LBB22_20
.LBB22_18:                              ;   in Loop: Header=BB22_8 Depth=1
	v_mov_b32_e32 v4, v14
	v_mov_b32_e32 v2, v16
	;; [unrolled: 1-line block ×4, first 2 shown]
	s_and_saveexec_b64 s[14:15], s[6:7]
	s_cbranch_execnz .LBB22_21
	s_branch .LBB22_22
.LBB22_19:                              ;   in Loop: Header=BB22_8 Depth=1
	s_mov_b64 s[6:7], 0
                                        ; implicit-def: $vgpr14_vgpr15
                                        ; implicit-def: $vgpr16_vgpr17
	s_cbranch_execz .LBB22_18
.LBB22_20:                              ;   in Loop: Header=BB22_8 Depth=1
	s_andn2_b64 s[6:7], s[6:7], exec
	s_and_b64 s[14:15], s[8:9], exec
	s_or_b64 s[6:7], s[6:7], s[14:15]
	s_and_saveexec_b64 s[14:15], s[6:7]
.LBB22_21:                              ;   in Loop: Header=BB22_8 Depth=1
	ds_write_b128 v19, v[2:5] offset:32768
.LBB22_22:                              ;   in Loop: Header=BB22_8 Depth=1
	s_or_b64 exec, exec, s[14:15]
	s_waitcnt vmcnt(0) lgkmcnt(0)
	s_barrier
	s_and_saveexec_b64 s[6:7], s[0:1]
	s_cbranch_execz .LBB22_7
; %bb.23:                               ;   in Loop: Header=BB22_8 Depth=1
	global_load_dwordx4 v[10:13], v19, s[24:25]
	ds_read_b128 v[2:5], v19 offset:32768
	s_mov_b64 s[14:15], 0
	s_waitcnt vmcnt(0) lgkmcnt(0)
	v_mul_f64 v[14:15], v[12:13], v[4:5]
	v_mul_f64 v[12:13], v[12:13], v[2:3]
	v_fma_f64 v[2:3], v[2:3], -v[10:11], -v[14:15]
	v_fma_f64 v[4:5], v[10:11], v[4:5], -v[12:13]
	v_mov_b32_e32 v11, v7
	v_mov_b32_e32 v13, v1
	;; [unrolled: 1-line block ×5, first 2 shown]
.LBB22_24:                              ;   Parent Loop BB22_8 Depth=1
                                        ; =>  This Inner Loop Header: Depth=2
	global_load_dwordx4 v[25:28], v[10:11], off offset:-8
	ds_read_b128 v[29:32], v14
	v_add_co_u32_e32 v12, vcc, s20, v12
	v_addc_co_u32_e32 v13, vcc, 0, v13, vcc
	s_waitcnt lgkmcnt(0)
	v_mul_f64 v[15:16], v[4:5], v[31:32]
	v_mul_f64 v[31:32], v[2:3], v[31:32]
	v_cmp_le_i64_e32 vcc, s[12:13], v[12:13]
	v_add_u32_e32 v14, 0x1000, v14
	s_or_b64 s[14:15], vcc, s[14:15]
	v_fma_f64 v[15:16], v[2:3], v[29:30], -v[15:16]
	v_fma_f64 v[29:30], v[4:5], v[29:30], v[31:32]
	s_waitcnt vmcnt(0)
	v_add_f64 v[25:26], v[25:26], v[15:16]
	v_add_f64 v[27:28], v[29:30], v[27:28]
	global_store_dwordx4 v[10:11], v[25:28], off offset:-8
	v_add_co_u32_e32 v10, vcc, 0x1000, v10
	v_addc_co_u32_e32 v11, vcc, 0, v11, vcc
	s_andn2_b64 exec, exec, s[14:15]
	s_cbranch_execnz .LBB22_24
	s_branch .LBB22_7
.LBB22_25:
	s_endpgm
	.section	.rodata,"a",@progbits
	.p2align	6, 0x0
	.amdhsa_kernel _ZN9rocsolver6v33100L22larf_left_kernel_smallILi256E19rocblas_complex_numIdElPS3_EEvT1_S5_T2_lS5_lPKT0_lS6_lS5_l
		.amdhsa_group_segment_fixed_size 36864
		.amdhsa_private_segment_fixed_size 0
		.amdhsa_kernarg_size 96
		.amdhsa_user_sgpr_count 6
		.amdhsa_user_sgpr_private_segment_buffer 1
		.amdhsa_user_sgpr_dispatch_ptr 0
		.amdhsa_user_sgpr_queue_ptr 0
		.amdhsa_user_sgpr_kernarg_segment_ptr 1
		.amdhsa_user_sgpr_dispatch_id 0
		.amdhsa_user_sgpr_flat_scratch_init 0
		.amdhsa_user_sgpr_private_segment_size 0
		.amdhsa_uses_dynamic_stack 0
		.amdhsa_system_sgpr_private_segment_wavefront_offset 0
		.amdhsa_system_sgpr_workgroup_id_x 1
		.amdhsa_system_sgpr_workgroup_id_y 1
		.amdhsa_system_sgpr_workgroup_id_z 0
		.amdhsa_system_sgpr_workgroup_info 0
		.amdhsa_system_vgpr_workitem_id 0
		.amdhsa_next_free_vgpr 129
		.amdhsa_next_free_sgpr 98
		.amdhsa_reserve_vcc 1
		.amdhsa_reserve_flat_scratch 0
		.amdhsa_float_round_mode_32 0
		.amdhsa_float_round_mode_16_64 0
		.amdhsa_float_denorm_mode_32 3
		.amdhsa_float_denorm_mode_16_64 3
		.amdhsa_dx10_clamp 1
		.amdhsa_ieee_mode 1
		.amdhsa_fp16_overflow 0
		.amdhsa_exception_fp_ieee_invalid_op 0
		.amdhsa_exception_fp_denorm_src 0
		.amdhsa_exception_fp_ieee_div_zero 0
		.amdhsa_exception_fp_ieee_overflow 0
		.amdhsa_exception_fp_ieee_underflow 0
		.amdhsa_exception_fp_ieee_inexact 0
		.amdhsa_exception_int_div_zero 0
	.end_amdhsa_kernel
	.section	.text._ZN9rocsolver6v33100L22larf_left_kernel_smallILi256E19rocblas_complex_numIdElPS3_EEvT1_S5_T2_lS5_lPKT0_lS6_lS5_l,"axG",@progbits,_ZN9rocsolver6v33100L22larf_left_kernel_smallILi256E19rocblas_complex_numIdElPS3_EEvT1_S5_T2_lS5_lPKT0_lS6_lS5_l,comdat
.Lfunc_end22:
	.size	_ZN9rocsolver6v33100L22larf_left_kernel_smallILi256E19rocblas_complex_numIdElPS3_EEvT1_S5_T2_lS5_lPKT0_lS6_lS5_l, .Lfunc_end22-_ZN9rocsolver6v33100L22larf_left_kernel_smallILi256E19rocblas_complex_numIdElPS3_EEvT1_S5_T2_lS5_lPKT0_lS6_lS5_l
                                        ; -- End function
	.set _ZN9rocsolver6v33100L22larf_left_kernel_smallILi256E19rocblas_complex_numIdElPS3_EEvT1_S5_T2_lS5_lPKT0_lS6_lS5_l.num_vgpr, 33
	.set _ZN9rocsolver6v33100L22larf_left_kernel_smallILi256E19rocblas_complex_numIdElPS3_EEvT1_S5_T2_lS5_lPKT0_lS6_lS5_l.num_agpr, 0
	.set _ZN9rocsolver6v33100L22larf_left_kernel_smallILi256E19rocblas_complex_numIdElPS3_EEvT1_S5_T2_lS5_lPKT0_lS6_lS5_l.numbered_sgpr, 30
	.set _ZN9rocsolver6v33100L22larf_left_kernel_smallILi256E19rocblas_complex_numIdElPS3_EEvT1_S5_T2_lS5_lPKT0_lS6_lS5_l.num_named_barrier, 0
	.set _ZN9rocsolver6v33100L22larf_left_kernel_smallILi256E19rocblas_complex_numIdElPS3_EEvT1_S5_T2_lS5_lPKT0_lS6_lS5_l.private_seg_size, 0
	.set _ZN9rocsolver6v33100L22larf_left_kernel_smallILi256E19rocblas_complex_numIdElPS3_EEvT1_S5_T2_lS5_lPKT0_lS6_lS5_l.uses_vcc, 1
	.set _ZN9rocsolver6v33100L22larf_left_kernel_smallILi256E19rocblas_complex_numIdElPS3_EEvT1_S5_T2_lS5_lPKT0_lS6_lS5_l.uses_flat_scratch, 0
	.set _ZN9rocsolver6v33100L22larf_left_kernel_smallILi256E19rocblas_complex_numIdElPS3_EEvT1_S5_T2_lS5_lPKT0_lS6_lS5_l.has_dyn_sized_stack, 0
	.set _ZN9rocsolver6v33100L22larf_left_kernel_smallILi256E19rocblas_complex_numIdElPS3_EEvT1_S5_T2_lS5_lPKT0_lS6_lS5_l.has_recursion, 0
	.set _ZN9rocsolver6v33100L22larf_left_kernel_smallILi256E19rocblas_complex_numIdElPS3_EEvT1_S5_T2_lS5_lPKT0_lS6_lS5_l.has_indirect_call, 0
	.section	.AMDGPU.csdata,"",@progbits
; Kernel info:
; codeLenInByte = 1640
; TotalNumSgprs: 34
; NumVgprs: 33
; ScratchSize: 0
; MemoryBound: 0
; FloatMode: 240
; IeeeMode: 1
; LDSByteSize: 36864 bytes/workgroup (compile time only)
; SGPRBlocks: 12
; VGPRBlocks: 32
; NumSGPRsForWavesPerEU: 102
; NumVGPRsForWavesPerEU: 129
; Occupancy: 1
; WaveLimiterHint : 0
; COMPUTE_PGM_RSRC2:SCRATCH_EN: 0
; COMPUTE_PGM_RSRC2:USER_SGPR: 6
; COMPUTE_PGM_RSRC2:TRAP_HANDLER: 0
; COMPUTE_PGM_RSRC2:TGID_X_EN: 1
; COMPUTE_PGM_RSRC2:TGID_Y_EN: 1
; COMPUTE_PGM_RSRC2:TGID_Z_EN: 0
; COMPUTE_PGM_RSRC2:TIDIG_COMP_CNT: 0
	.section	.text._ZN9rocsolver6v33100L22larf_left_kernel_smallILi512E19rocblas_complex_numIdElPS3_EEvT1_S5_T2_lS5_lPKT0_lS6_lS5_l,"axG",@progbits,_ZN9rocsolver6v33100L22larf_left_kernel_smallILi512E19rocblas_complex_numIdElPS3_EEvT1_S5_T2_lS5_lPKT0_lS6_lS5_l,comdat
	.globl	_ZN9rocsolver6v33100L22larf_left_kernel_smallILi512E19rocblas_complex_numIdElPS3_EEvT1_S5_T2_lS5_lPKT0_lS6_lS5_l ; -- Begin function _ZN9rocsolver6v33100L22larf_left_kernel_smallILi512E19rocblas_complex_numIdElPS3_EEvT1_S5_T2_lS5_lPKT0_lS6_lS5_l
	.p2align	8
	.type	_ZN9rocsolver6v33100L22larf_left_kernel_smallILi512E19rocblas_complex_numIdElPS3_EEvT1_S5_T2_lS5_lPKT0_lS6_lS5_l,@function
_ZN9rocsolver6v33100L22larf_left_kernel_smallILi512E19rocblas_complex_numIdElPS3_EEvT1_S5_T2_lS5_lPKT0_lS6_lS5_l: ; @_ZN9rocsolver6v33100L22larf_left_kernel_smallILi512E19rocblas_complex_numIdElPS3_EEvT1_S5_T2_lS5_lPKT0_lS6_lS5_l
; %bb.0:
	s_load_dwordx16 s[12:27], s[4:5], 0x0
	s_mov_b32 s10, s7
	s_mov_b64 s[2:3], 0
	s_waitcnt lgkmcnt(0)
	v_cmp_gt_i64_e64 s[0:1], s[20:21], 0
	s_and_b64 vcc, exec, s[0:1]
	s_cbranch_vccnz .LBB23_2
; %bb.1:
	s_sub_u32 s0, 1, s12
	s_subb_u32 s1, 0, s13
	s_mul_i32 s1, s20, s1
	s_mul_hi_u32 s2, s20, s0
	s_add_i32 s1, s2, s1
	s_mul_i32 s2, s21, s0
	s_add_i32 s3, s1, s2
	s_mul_i32 s2, s20, s0
.LBB23_2:
	v_mov_b32_e32 v1, 0
	v_cmp_gt_i64_e64 s[0:1], s[12:13], v[0:1]
	v_lshlrev_b32_e32 v16, 4, v0
	s_and_saveexec_b64 s[8:9], s[0:1]
	s_cbranch_execz .LBB23_5
; %bb.3:
	v_mad_u64_u32 v[2:3], s[28:29], s20, v0, 0
	s_mul_i32 s7, s23, s6
	s_mul_hi_u32 s11, s22, s6
	s_add_i32 s23, s11, s7
	s_mul_i32 s22, s22, s6
	s_lshl_b64 s[22:23], s[22:23], 4
	s_lshl_b64 s[2:3], s[2:3], 4
	;; [unrolled: 1-line block ×3, first 2 shown]
	v_mad_u64_u32 v[3:4], s[28:29], s21, v0, v[3:4]
	s_add_u32 s7, s16, s18
	s_addc_u32 s11, s17, s19
	s_add_u32 s2, s7, s2
	s_addc_u32 s3, s11, s3
	v_lshlrev_b64 v[2:3], 4, v[2:3]
	s_add_u32 s2, s2, s22
	s_addc_u32 s3, s3, s23
	v_mov_b32_e32 v4, s3
	v_add_co_u32_e32 v2, vcc, s2, v2
	v_addc_co_u32_e32 v3, vcc, v4, v3, vcc
	s_lshl_b64 s[16:17], s[20:21], 13
	v_mov_b32_e32 v5, v1
	v_lshlrev_b32_e32 v6, 4, v0
	s_mov_b64 s[18:19], 0
	v_mov_b32_e32 v7, s17
	v_mov_b32_e32 v4, v0
.LBB23_4:                               ; =>This Inner Loop Header: Depth=1
	global_load_dwordx4 v[8:11], v[2:3], off
	v_add_co_u32_e32 v4, vcc, 0x200, v4
	v_addc_co_u32_e32 v5, vcc, 0, v5, vcc
	v_cmp_le_i64_e32 vcc, s[12:13], v[4:5]
	v_add_co_u32_e64 v2, s[2:3], s16, v2
	v_addc_co_u32_e64 v3, s[2:3], v3, v7, s[2:3]
	s_or_b64 s[18:19], vcc, s[18:19]
	s_waitcnt vmcnt(0)
	ds_write2_b64 v6, v[8:9], v[10:11] offset1:1
	v_add_u32_e32 v6, 0x2000, v6
	s_andn2_b64 exec, exec, s[18:19]
	s_cbranch_execnz .LBB23_4
.LBB23_5:
	s_or_b64 exec, exec, s[8:9]
	s_mov_b32 s11, 0
	v_mov_b32_e32 v2, s10
	v_mov_b32_e32 v3, s11
	v_cmp_le_i64_e32 vcc, s[14:15], v[2:3]
	s_waitcnt lgkmcnt(0)
	s_barrier
	s_cbranch_vccnz .LBB23_25
; %bb.6:
	s_load_dwordx8 s[16:23], s[4:5], 0x40
	s_mul_i32 s2, s27, s6
	s_mul_hi_u32 s3, s26, s6
	s_add_i32 s3, s3, s2
	s_mul_i32 s2, s26, s6
	s_lshl_b64 s[2:3], s[2:3], 4
	s_add_u32 s24, s24, s2
	s_addc_u32 s25, s25, s3
	s_cmp_gt_i32 s12, 1
	s_waitcnt lgkmcnt(0)
	s_mul_i32 s7, s23, s6
	s_mul_hi_u32 s23, s22, s6
	s_cselect_b64 s[26:27], -1, 0
	s_add_i32 s7, s23, s7
	s_mul_i32 s6, s22, s6
	s_mul_i32 s22, s21, s10
	s_mul_hi_u32 s23, s20, s10
	s_add_i32 s23, s23, s22
	s_mul_i32 s22, s20, s10
	s_lshl_b64 s[6:7], s[6:7], 4
	s_lshl_b64 s[22:23], s[22:23], 4
	s_add_u32 s22, s6, s22
	s_addc_u32 s23, s7, s23
	s_lshl_b64 s[6:7], s[18:19], 4
	s_add_u32 s6, s22, s6
	s_addc_u32 s7, s23, s7
	s_add_u32 s6, s16, s6
	v_and_b32_e32 v2, 63, v0
	v_lshlrev_b32_e32 v3, 4, v0
	s_addc_u32 s7, s17, s7
	v_cmp_eq_u32_e64 s[4:5], 0, v2
	v_lshrrev_b32_e32 v2, 2, v0
	v_mov_b32_e32 v4, s7
	v_add_co_u32_e32 v3, vcc, s6, v3
	v_addc_co_u32_e32 v4, vcc, 0, v4, vcc
	v_or_b32_e32 v18, 0x8000, v2
	v_mbcnt_lo_u32_b32 v2, -1, 0
	v_add_co_u32_e32 v6, vcc, 8, v3
	v_mbcnt_hi_u32_b32 v19, -1, v2
	v_mov_b32_e32 v2, 0x80
	v_cmp_gt_i32_e64 s[2:3], s12, v0
	v_cmp_eq_u32_e64 s[8:9], 0, v0
	v_mov_b32_e32 v17, 0
	v_addc_co_u32_e32 v7, vcc, 0, v4, vcc
	s_lshl_b64 s[16:17], s[20:21], 10
	s_movk_i32 s22, 0x200
	v_and_b32_e32 v20, 63, v19
	v_lshl_or_b32 v21, v19, 2, v2
	s_branch .LBB23_8
.LBB23_7:                               ;   in Loop: Header=BB23_8 Depth=1
	s_or_b64 exec, exec, s[6:7]
	s_add_u32 s10, s10, 64
	v_mov_b32_e32 v2, s14
	s_addc_u32 s11, s11, 0
	v_mov_b32_e32 v3, s15
	v_cmp_ge_i64_e32 vcc, s[10:11], v[2:3]
	v_mov_b32_e32 v4, s17
	v_add_co_u32_e64 v6, s[6:7], s16, v6
	v_addc_co_u32_e64 v7, s[6:7], v7, v4, s[6:7]
	s_cbranch_vccnz .LBB23_25
.LBB23_8:                               ; =>This Loop Header: Depth=1
                                        ;     Child Loop BB23_10 Depth 2
                                        ;     Child Loop BB23_24 Depth 2
	v_mov_b32_e32 v4, 0
	v_mov_b32_e32 v2, 0
	;; [unrolled: 1-line block ×4, first 2 shown]
	s_and_saveexec_b64 s[18:19], s[2:3]
	s_cbranch_execz .LBB23_12
; %bb.9:                                ;   in Loop: Header=BB23_8 Depth=1
	v_mov_b32_e32 v4, 0
	v_mov_b32_e32 v9, v7
	;; [unrolled: 1-line block ×4, first 2 shown]
	s_mov_b64 s[20:21], 0
	v_mov_b32_e32 v8, v6
	v_mov_b32_e32 v10, v16
	;; [unrolled: 1-line block ×4, first 2 shown]
.LBB23_10:                              ;   Parent Loop BB23_8 Depth=1
                                        ; =>  This Inner Loop Header: Depth=2
	global_load_dwordx4 v[12:15], v[8:9], off offset:-8
	ds_read_b128 v[22:25], v10
	v_add_u32_e32 v11, 0x200, v11
	v_add_co_u32_e32 v8, vcc, 0x2000, v8
	v_cmp_le_i32_e64 s[6:7], s12, v11
	v_add_u32_e32 v10, 0x2000, v10
	s_or_b64 s[20:21], s[6:7], s[20:21]
	v_addc_co_u32_e32 v9, vcc, 0, v9, vcc
	s_waitcnt vmcnt(0) lgkmcnt(0)
	v_mul_f64 v[26:27], v[14:15], v[24:25]
	v_mul_f64 v[14:15], v[14:15], v[22:23]
	v_fma_f64 v[22:23], v[12:13], v[22:23], v[26:27]
	v_fma_f64 v[12:13], v[12:13], v[24:25], -v[14:15]
	v_add_f64 v[2:3], v[2:3], v[22:23]
	v_add_f64 v[4:5], v[4:5], v[12:13]
	s_andn2_b64 exec, exec, s[20:21]
	s_cbranch_execnz .LBB23_10
; %bb.11:                               ;   in Loop: Header=BB23_8 Depth=1
	s_or_b64 exec, exec, s[20:21]
.LBB23_12:                              ;   in Loop: Header=BB23_8 Depth=1
	s_or_b64 exec, exec, s[18:19]
	s_and_b64 vcc, exec, s[26:27]
	s_cbranch_vccz .LBB23_19
; %bb.13:                               ;   in Loop: Header=BB23_8 Depth=1
	v_cmp_ne_u32_e32 vcc, 63, v20
	v_addc_co_u32_e32 v8, vcc, 0, v19, vcc
	v_lshlrev_b32_e32 v11, 2, v8
	ds_bpermute_b32 v8, v11, v2
	ds_bpermute_b32 v9, v11, v3
	;; [unrolled: 1-line block ×4, first 2 shown]
	v_cmp_gt_u32_e32 vcc, 62, v20
	v_cndmask_b32_e64 v12, 0, 2, vcc
	s_waitcnt lgkmcnt(2)
	v_add_f64 v[8:9], v[2:3], v[8:9]
	v_add_lshl_u32 v15, v12, v19, 2
	s_waitcnt lgkmcnt(0)
	v_add_f64 v[10:11], v[4:5], v[10:11]
	v_cmp_gt_u32_e32 vcc, 60, v20
	ds_bpermute_b32 v12, v15, v8
	ds_bpermute_b32 v13, v15, v9
	ds_bpermute_b32 v14, v15, v10
	ds_bpermute_b32 v15, v15, v11
	s_waitcnt lgkmcnt(2)
	v_add_f64 v[8:9], v[8:9], v[12:13]
	v_cndmask_b32_e64 v12, 0, 4, vcc
	s_waitcnt lgkmcnt(0)
	v_add_f64 v[10:11], v[10:11], v[14:15]
	v_add_lshl_u32 v15, v12, v19, 2
	v_cmp_gt_u32_e32 vcc, 56, v20
	ds_bpermute_b32 v12, v15, v8
	ds_bpermute_b32 v13, v15, v9
	ds_bpermute_b32 v14, v15, v10
	ds_bpermute_b32 v15, v15, v11
	s_waitcnt lgkmcnt(2)
	v_add_f64 v[8:9], v[8:9], v[12:13]
	v_cndmask_b32_e64 v12, 0, 8, vcc
	s_waitcnt lgkmcnt(0)
	v_add_f64 v[10:11], v[10:11], v[14:15]
	v_add_lshl_u32 v15, v12, v19, 2
	;; [unrolled: 11-line block ×3, first 2 shown]
	ds_bpermute_b32 v12, v15, v8
	ds_bpermute_b32 v13, v15, v9
	ds_bpermute_b32 v14, v15, v10
	ds_bpermute_b32 v15, v15, v11
	s_waitcnt lgkmcnt(2)
	v_add_f64 v[8:9], v[8:9], v[12:13]
	s_waitcnt lgkmcnt(0)
	v_add_f64 v[10:11], v[10:11], v[14:15]
	ds_bpermute_b32 v12, v21, v8
	ds_bpermute_b32 v13, v21, v9
	;; [unrolled: 1-line block ×4, first 2 shown]
	s_waitcnt lgkmcnt(2)
	v_add_f64 v[8:9], v[8:9], v[12:13]
	s_waitcnt lgkmcnt(0)
	v_add_f64 v[10:11], v[10:11], v[14:15]
	s_and_saveexec_b64 s[6:7], s[4:5]
; %bb.14:                               ;   in Loop: Header=BB23_8 Depth=1
	ds_write2_b64 v18, v[8:9], v[10:11] offset1:1
; %bb.15:                               ;   in Loop: Header=BB23_8 Depth=1
	s_or_b64 exec, exec, s[6:7]
	s_mov_b64 s[18:19], 0
	s_mov_b64 s[6:7], 0
	s_waitcnt vmcnt(0) lgkmcnt(0)
	s_barrier
                                        ; implicit-def: $vgpr12_vgpr13
                                        ; implicit-def: $vgpr14_vgpr15
	s_and_saveexec_b64 s[20:21], s[8:9]
	s_xor_b64 s[20:21], exec, s[20:21]
	s_cbranch_execz .LBB23_17
; %bb.16:                               ;   in Loop: Header=BB23_8 Depth=1
	ds_read_b128 v[12:15], v17 offset:32784
	ds_read_b128 v[22:25], v17 offset:32800
	s_mov_b64 s[6:7], exec
	s_waitcnt lgkmcnt(1)
	v_add_f64 v[8:9], v[8:9], v[12:13]
	v_add_f64 v[10:11], v[10:11], v[14:15]
	s_waitcnt lgkmcnt(0)
	v_add_f64 v[22:23], v[8:9], v[22:23]
	v_add_f64 v[24:25], v[10:11], v[24:25]
	ds_read_b128 v[8:11], v17 offset:32816
	ds_read_b128 v[12:15], v17 offset:32832
	s_waitcnt lgkmcnt(1)
	v_add_f64 v[8:9], v[22:23], v[8:9]
	v_add_f64 v[10:11], v[24:25], v[10:11]
	s_waitcnt lgkmcnt(0)
	v_add_f64 v[22:23], v[8:9], v[12:13]
	v_add_f64 v[24:25], v[10:11], v[14:15]
	ds_read_b128 v[8:11], v17 offset:32848
	ds_read_b128 v[12:15], v17 offset:32864
	s_waitcnt lgkmcnt(1)
	v_add_f64 v[8:9], v[22:23], v[8:9]
	v_add_f64 v[10:11], v[24:25], v[10:11]
	s_waitcnt lgkmcnt(0)
	v_add_f64 v[12:13], v[8:9], v[12:13]
	v_add_f64 v[22:23], v[10:11], v[14:15]
	ds_read_b128 v[8:11], v17 offset:32880
	s_waitcnt lgkmcnt(0)
	v_add_f64 v[14:15], v[12:13], v[8:9]
	v_add_f64 v[12:13], v[22:23], v[10:11]
.LBB23_17:                              ;   in Loop: Header=BB23_8 Depth=1
	s_or_b64 exec, exec, s[20:21]
	s_and_b64 vcc, exec, s[18:19]
	s_cbranch_vccnz .LBB23_20
.LBB23_18:                              ;   in Loop: Header=BB23_8 Depth=1
	v_mov_b32_e32 v4, v12
	v_mov_b32_e32 v2, v14
	;; [unrolled: 1-line block ×4, first 2 shown]
	s_and_saveexec_b64 s[18:19], s[6:7]
	s_cbranch_execnz .LBB23_21
	s_branch .LBB23_22
.LBB23_19:                              ;   in Loop: Header=BB23_8 Depth=1
	s_mov_b64 s[6:7], 0
                                        ; implicit-def: $vgpr12_vgpr13
                                        ; implicit-def: $vgpr14_vgpr15
	s_cbranch_execz .LBB23_18
.LBB23_20:                              ;   in Loop: Header=BB23_8 Depth=1
	s_andn2_b64 s[6:7], s[6:7], exec
	s_and_b64 s[18:19], s[8:9], exec
	s_or_b64 s[6:7], s[6:7], s[18:19]
	s_and_saveexec_b64 s[18:19], s[6:7]
.LBB23_21:                              ;   in Loop: Header=BB23_8 Depth=1
	ds_write_b128 v17, v[2:5] offset:32768
.LBB23_22:                              ;   in Loop: Header=BB23_8 Depth=1
	s_or_b64 exec, exec, s[18:19]
	s_waitcnt vmcnt(0) lgkmcnt(0)
	s_barrier
	s_and_saveexec_b64 s[6:7], s[0:1]
	s_cbranch_execz .LBB23_7
; %bb.23:                               ;   in Loop: Header=BB23_8 Depth=1
	global_load_dwordx4 v[8:11], v17, s[24:25]
	ds_read_b128 v[2:5], v17 offset:32768
	s_mov_b64 s[18:19], 0
	s_waitcnt vmcnt(0) lgkmcnt(0)
	v_mul_f64 v[12:13], v[10:11], v[4:5]
	v_mul_f64 v[10:11], v[10:11], v[2:3]
	v_fma_f64 v[2:3], v[2:3], -v[8:9], -v[12:13]
	v_fma_f64 v[4:5], v[8:9], v[4:5], -v[10:11]
	v_mov_b32_e32 v9, v7
	v_mov_b32_e32 v11, v1
	;; [unrolled: 1-line block ×5, first 2 shown]
.LBB23_24:                              ;   Parent Loop BB23_8 Depth=1
                                        ; =>  This Inner Loop Header: Depth=2
	global_load_dwordx4 v[22:25], v[8:9], off offset:-8
	ds_read_b128 v[26:29], v12
	v_add_co_u32_e32 v10, vcc, s22, v10
	v_addc_co_u32_e32 v11, vcc, 0, v11, vcc
	s_waitcnt lgkmcnt(0)
	v_mul_f64 v[13:14], v[4:5], v[28:29]
	v_mul_f64 v[28:29], v[2:3], v[28:29]
	v_cmp_le_i64_e32 vcc, s[12:13], v[10:11]
	v_add_u32_e32 v12, 0x2000, v12
	s_or_b64 s[18:19], vcc, s[18:19]
	v_fma_f64 v[13:14], v[2:3], v[26:27], -v[13:14]
	v_fma_f64 v[26:27], v[4:5], v[26:27], v[28:29]
	s_waitcnt vmcnt(0)
	v_add_f64 v[22:23], v[22:23], v[13:14]
	v_add_f64 v[24:25], v[26:27], v[24:25]
	global_store_dwordx4 v[8:9], v[22:25], off offset:-8
	v_add_co_u32_e32 v8, vcc, 0x2000, v8
	v_addc_co_u32_e32 v9, vcc, 0, v9, vcc
	s_andn2_b64 exec, exec, s[18:19]
	s_cbranch_execnz .LBB23_24
	s_branch .LBB23_7
.LBB23_25:
	s_endpgm
	.section	.rodata,"a",@progbits
	.p2align	6, 0x0
	.amdhsa_kernel _ZN9rocsolver6v33100L22larf_left_kernel_smallILi512E19rocblas_complex_numIdElPS3_EEvT1_S5_T2_lS5_lPKT0_lS6_lS5_l
		.amdhsa_group_segment_fixed_size 40960
		.amdhsa_private_segment_fixed_size 0
		.amdhsa_kernarg_size 96
		.amdhsa_user_sgpr_count 6
		.amdhsa_user_sgpr_private_segment_buffer 1
		.amdhsa_user_sgpr_dispatch_ptr 0
		.amdhsa_user_sgpr_queue_ptr 0
		.amdhsa_user_sgpr_kernarg_segment_ptr 1
		.amdhsa_user_sgpr_dispatch_id 0
		.amdhsa_user_sgpr_flat_scratch_init 0
		.amdhsa_user_sgpr_private_segment_size 0
		.amdhsa_uses_dynamic_stack 0
		.amdhsa_system_sgpr_private_segment_wavefront_offset 0
		.amdhsa_system_sgpr_workgroup_id_x 1
		.amdhsa_system_sgpr_workgroup_id_y 1
		.amdhsa_system_sgpr_workgroup_id_z 0
		.amdhsa_system_sgpr_workgroup_info 0
		.amdhsa_system_vgpr_workitem_id 0
		.amdhsa_next_free_vgpr 85
		.amdhsa_next_free_sgpr 98
		.amdhsa_reserve_vcc 1
		.amdhsa_reserve_flat_scratch 0
		.amdhsa_float_round_mode_32 0
		.amdhsa_float_round_mode_16_64 0
		.amdhsa_float_denorm_mode_32 3
		.amdhsa_float_denorm_mode_16_64 3
		.amdhsa_dx10_clamp 1
		.amdhsa_ieee_mode 1
		.amdhsa_fp16_overflow 0
		.amdhsa_exception_fp_ieee_invalid_op 0
		.amdhsa_exception_fp_denorm_src 0
		.amdhsa_exception_fp_ieee_div_zero 0
		.amdhsa_exception_fp_ieee_overflow 0
		.amdhsa_exception_fp_ieee_underflow 0
		.amdhsa_exception_fp_ieee_inexact 0
		.amdhsa_exception_int_div_zero 0
	.end_amdhsa_kernel
	.section	.text._ZN9rocsolver6v33100L22larf_left_kernel_smallILi512E19rocblas_complex_numIdElPS3_EEvT1_S5_T2_lS5_lPKT0_lS6_lS5_l,"axG",@progbits,_ZN9rocsolver6v33100L22larf_left_kernel_smallILi512E19rocblas_complex_numIdElPS3_EEvT1_S5_T2_lS5_lPKT0_lS6_lS5_l,comdat
.Lfunc_end23:
	.size	_ZN9rocsolver6v33100L22larf_left_kernel_smallILi512E19rocblas_complex_numIdElPS3_EEvT1_S5_T2_lS5_lPKT0_lS6_lS5_l, .Lfunc_end23-_ZN9rocsolver6v33100L22larf_left_kernel_smallILi512E19rocblas_complex_numIdElPS3_EEvT1_S5_T2_lS5_lPKT0_lS6_lS5_l
                                        ; -- End function
	.set _ZN9rocsolver6v33100L22larf_left_kernel_smallILi512E19rocblas_complex_numIdElPS3_EEvT1_S5_T2_lS5_lPKT0_lS6_lS5_l.num_vgpr, 30
	.set _ZN9rocsolver6v33100L22larf_left_kernel_smallILi512E19rocblas_complex_numIdElPS3_EEvT1_S5_T2_lS5_lPKT0_lS6_lS5_l.num_agpr, 0
	.set _ZN9rocsolver6v33100L22larf_left_kernel_smallILi512E19rocblas_complex_numIdElPS3_EEvT1_S5_T2_lS5_lPKT0_lS6_lS5_l.numbered_sgpr, 30
	.set _ZN9rocsolver6v33100L22larf_left_kernel_smallILi512E19rocblas_complex_numIdElPS3_EEvT1_S5_T2_lS5_lPKT0_lS6_lS5_l.num_named_barrier, 0
	.set _ZN9rocsolver6v33100L22larf_left_kernel_smallILi512E19rocblas_complex_numIdElPS3_EEvT1_S5_T2_lS5_lPKT0_lS6_lS5_l.private_seg_size, 0
	.set _ZN9rocsolver6v33100L22larf_left_kernel_smallILi512E19rocblas_complex_numIdElPS3_EEvT1_S5_T2_lS5_lPKT0_lS6_lS5_l.uses_vcc, 1
	.set _ZN9rocsolver6v33100L22larf_left_kernel_smallILi512E19rocblas_complex_numIdElPS3_EEvT1_S5_T2_lS5_lPKT0_lS6_lS5_l.uses_flat_scratch, 0
	.set _ZN9rocsolver6v33100L22larf_left_kernel_smallILi512E19rocblas_complex_numIdElPS3_EEvT1_S5_T2_lS5_lPKT0_lS6_lS5_l.has_dyn_sized_stack, 0
	.set _ZN9rocsolver6v33100L22larf_left_kernel_smallILi512E19rocblas_complex_numIdElPS3_EEvT1_S5_T2_lS5_lPKT0_lS6_lS5_l.has_recursion, 0
	.set _ZN9rocsolver6v33100L22larf_left_kernel_smallILi512E19rocblas_complex_numIdElPS3_EEvT1_S5_T2_lS5_lPKT0_lS6_lS5_l.has_indirect_call, 0
	.section	.AMDGPU.csdata,"",@progbits
; Kernel info:
; codeLenInByte = 1752
; TotalNumSgprs: 34
; NumVgprs: 30
; ScratchSize: 0
; MemoryBound: 0
; FloatMode: 240
; IeeeMode: 1
; LDSByteSize: 40960 bytes/workgroup (compile time only)
; SGPRBlocks: 12
; VGPRBlocks: 21
; NumSGPRsForWavesPerEU: 102
; NumVGPRsForWavesPerEU: 85
; Occupancy: 2
; WaveLimiterHint : 0
; COMPUTE_PGM_RSRC2:SCRATCH_EN: 0
; COMPUTE_PGM_RSRC2:USER_SGPR: 6
; COMPUTE_PGM_RSRC2:TRAP_HANDLER: 0
; COMPUTE_PGM_RSRC2:TGID_X_EN: 1
; COMPUTE_PGM_RSRC2:TGID_Y_EN: 1
; COMPUTE_PGM_RSRC2:TGID_Z_EN: 0
; COMPUTE_PGM_RSRC2:TIDIG_COMP_CNT: 0
	.section	.text._ZN9rocsolver6v33100L22larf_left_kernel_smallILi1024E19rocblas_complex_numIdElPS3_EEvT1_S5_T2_lS5_lPKT0_lS6_lS5_l,"axG",@progbits,_ZN9rocsolver6v33100L22larf_left_kernel_smallILi1024E19rocblas_complex_numIdElPS3_EEvT1_S5_T2_lS5_lPKT0_lS6_lS5_l,comdat
	.globl	_ZN9rocsolver6v33100L22larf_left_kernel_smallILi1024E19rocblas_complex_numIdElPS3_EEvT1_S5_T2_lS5_lPKT0_lS6_lS5_l ; -- Begin function _ZN9rocsolver6v33100L22larf_left_kernel_smallILi1024E19rocblas_complex_numIdElPS3_EEvT1_S5_T2_lS5_lPKT0_lS6_lS5_l
	.p2align	8
	.type	_ZN9rocsolver6v33100L22larf_left_kernel_smallILi1024E19rocblas_complex_numIdElPS3_EEvT1_S5_T2_lS5_lPKT0_lS6_lS5_l,@function
_ZN9rocsolver6v33100L22larf_left_kernel_smallILi1024E19rocblas_complex_numIdElPS3_EEvT1_S5_T2_lS5_lPKT0_lS6_lS5_l: ; @_ZN9rocsolver6v33100L22larf_left_kernel_smallILi1024E19rocblas_complex_numIdElPS3_EEvT1_S5_T2_lS5_lPKT0_lS6_lS5_l
; %bb.0:
	s_load_dwordx16 s[12:27], s[4:5], 0x0
	s_mov_b32 s10, s7
	s_mov_b64 s[2:3], 0
	s_waitcnt lgkmcnt(0)
	v_cmp_gt_i64_e64 s[0:1], s[20:21], 0
	s_and_b64 vcc, exec, s[0:1]
	s_cbranch_vccnz .LBB24_2
; %bb.1:
	s_sub_u32 s0, 1, s12
	s_subb_u32 s1, 0, s13
	s_mul_i32 s1, s20, s1
	s_mul_hi_u32 s2, s20, s0
	s_add_i32 s1, s2, s1
	s_mul_i32 s2, s21, s0
	s_add_i32 s3, s1, s2
	s_mul_i32 s2, s20, s0
.LBB24_2:
	v_mov_b32_e32 v1, 0
	v_cmp_gt_i64_e64 s[0:1], s[12:13], v[0:1]
	v_lshlrev_b32_e32 v16, 4, v0
	s_and_saveexec_b64 s[8:9], s[0:1]
	s_cbranch_execz .LBB24_5
; %bb.3:
	v_mad_u64_u32 v[2:3], s[28:29], s20, v0, 0
	s_mul_i32 s7, s23, s6
	s_mul_hi_u32 s11, s22, s6
	s_add_i32 s23, s11, s7
	s_mul_i32 s22, s22, s6
	s_lshl_b64 s[22:23], s[22:23], 4
	s_lshl_b64 s[2:3], s[2:3], 4
	;; [unrolled: 1-line block ×3, first 2 shown]
	v_mad_u64_u32 v[3:4], s[28:29], s21, v0, v[3:4]
	s_add_u32 s7, s16, s18
	s_addc_u32 s11, s17, s19
	s_add_u32 s2, s7, s2
	s_addc_u32 s3, s11, s3
	v_lshlrev_b64 v[2:3], 4, v[2:3]
	s_add_u32 s2, s2, s22
	s_addc_u32 s3, s3, s23
	v_mov_b32_e32 v4, s3
	v_add_co_u32_e32 v2, vcc, s2, v2
	v_addc_co_u32_e32 v3, vcc, v4, v3, vcc
	s_lshl_b64 s[16:17], s[20:21], 14
	v_mov_b32_e32 v5, v1
	v_lshlrev_b32_e32 v6, 4, v0
	s_mov_b64 s[18:19], 0
	v_mov_b32_e32 v7, s17
	v_mov_b32_e32 v4, v0
.LBB24_4:                               ; =>This Inner Loop Header: Depth=1
	global_load_dwordx4 v[8:11], v[2:3], off
	v_add_co_u32_e32 v4, vcc, 0x400, v4
	v_addc_co_u32_e32 v5, vcc, 0, v5, vcc
	v_cmp_le_i64_e32 vcc, s[12:13], v[4:5]
	v_add_co_u32_e64 v2, s[2:3], s16, v2
	v_addc_co_u32_e64 v3, s[2:3], v3, v7, s[2:3]
	s_or_b64 s[18:19], vcc, s[18:19]
	s_waitcnt vmcnt(0)
	ds_write2_b64 v6, v[8:9], v[10:11] offset1:1
	v_add_u32_e32 v6, 0x4000, v6
	s_andn2_b64 exec, exec, s[18:19]
	s_cbranch_execnz .LBB24_4
.LBB24_5:
	s_or_b64 exec, exec, s[8:9]
	s_mov_b32 s11, 0
	v_mov_b32_e32 v2, s10
	v_mov_b32_e32 v3, s11
	v_cmp_le_i64_e32 vcc, s[14:15], v[2:3]
	s_waitcnt lgkmcnt(0)
	s_barrier
	s_cbranch_vccnz .LBB24_25
; %bb.6:
	s_load_dwordx8 s[16:23], s[4:5], 0x40
	s_mul_i32 s2, s27, s6
	s_mul_hi_u32 s3, s26, s6
	s_add_i32 s3, s3, s2
	s_mul_i32 s2, s26, s6
	s_lshl_b64 s[2:3], s[2:3], 4
	s_add_u32 s24, s24, s2
	s_addc_u32 s25, s25, s3
	s_cmp_gt_i32 s12, 1
	s_waitcnt lgkmcnt(0)
	s_mul_i32 s7, s23, s6
	s_mul_hi_u32 s23, s22, s6
	s_cselect_b64 s[26:27], -1, 0
	s_add_i32 s7, s23, s7
	s_mul_i32 s6, s22, s6
	s_mul_i32 s22, s21, s10
	s_mul_hi_u32 s23, s20, s10
	s_add_i32 s23, s23, s22
	s_mul_i32 s22, s20, s10
	s_lshl_b64 s[6:7], s[6:7], 4
	s_lshl_b64 s[22:23], s[22:23], 4
	s_add_u32 s22, s6, s22
	s_addc_u32 s23, s7, s23
	s_lshl_b64 s[6:7], s[18:19], 4
	s_add_u32 s6, s22, s6
	s_addc_u32 s7, s23, s7
	s_add_u32 s6, s16, s6
	v_and_b32_e32 v2, 63, v0
	v_lshlrev_b32_e32 v3, 4, v0
	s_addc_u32 s7, s17, s7
	v_cmp_eq_u32_e64 s[4:5], 0, v2
	v_lshrrev_b32_e32 v2, 2, v0
	v_mov_b32_e32 v4, s7
	v_add_co_u32_e32 v3, vcc, s6, v3
	v_addc_co_u32_e32 v4, vcc, 0, v4, vcc
	v_or_b32_e32 v18, 0x8000, v2
	v_mbcnt_lo_u32_b32 v2, -1, 0
	v_add_co_u32_e32 v6, vcc, 8, v3
	v_mbcnt_hi_u32_b32 v19, -1, v2
	v_mov_b32_e32 v2, 0x80
	v_cmp_gt_i32_e64 s[2:3], s12, v0
	v_cmp_eq_u32_e64 s[8:9], 0, v0
	v_mov_b32_e32 v17, 0
	v_addc_co_u32_e32 v7, vcc, 0, v4, vcc
	s_lshl_b64 s[16:17], s[20:21], 10
	s_movk_i32 s22, 0x400
	v_and_b32_e32 v20, 63, v19
	v_lshl_or_b32 v21, v19, 2, v2
	s_branch .LBB24_8
.LBB24_7:                               ;   in Loop: Header=BB24_8 Depth=1
	s_or_b64 exec, exec, s[6:7]
	s_add_u32 s10, s10, 64
	v_mov_b32_e32 v2, s14
	s_addc_u32 s11, s11, 0
	v_mov_b32_e32 v3, s15
	v_cmp_ge_i64_e32 vcc, s[10:11], v[2:3]
	v_mov_b32_e32 v4, s17
	v_add_co_u32_e64 v6, s[6:7], s16, v6
	v_addc_co_u32_e64 v7, s[6:7], v7, v4, s[6:7]
	s_cbranch_vccnz .LBB24_25
.LBB24_8:                               ; =>This Loop Header: Depth=1
                                        ;     Child Loop BB24_10 Depth 2
                                        ;     Child Loop BB24_24 Depth 2
	v_mov_b32_e32 v4, 0
	v_mov_b32_e32 v2, 0
	;; [unrolled: 1-line block ×4, first 2 shown]
	s_and_saveexec_b64 s[18:19], s[2:3]
	s_cbranch_execz .LBB24_12
; %bb.9:                                ;   in Loop: Header=BB24_8 Depth=1
	v_mov_b32_e32 v4, 0
	v_mov_b32_e32 v9, v7
	;; [unrolled: 1-line block ×4, first 2 shown]
	s_mov_b64 s[20:21], 0
	v_mov_b32_e32 v8, v6
	v_mov_b32_e32 v10, v16
	;; [unrolled: 1-line block ×4, first 2 shown]
.LBB24_10:                              ;   Parent Loop BB24_8 Depth=1
                                        ; =>  This Inner Loop Header: Depth=2
	global_load_dwordx4 v[12:15], v[8:9], off offset:-8
	ds_read_b128 v[22:25], v10
	v_add_u32_e32 v11, 0x400, v11
	v_add_co_u32_e32 v8, vcc, 0x4000, v8
	v_cmp_le_i32_e64 s[6:7], s12, v11
	v_add_u32_e32 v10, 0x4000, v10
	s_or_b64 s[20:21], s[6:7], s[20:21]
	v_addc_co_u32_e32 v9, vcc, 0, v9, vcc
	s_waitcnt vmcnt(0) lgkmcnt(0)
	v_mul_f64 v[26:27], v[14:15], v[24:25]
	v_mul_f64 v[14:15], v[14:15], v[22:23]
	v_fma_f64 v[22:23], v[12:13], v[22:23], v[26:27]
	v_fma_f64 v[12:13], v[12:13], v[24:25], -v[14:15]
	v_add_f64 v[2:3], v[2:3], v[22:23]
	v_add_f64 v[4:5], v[4:5], v[12:13]
	s_andn2_b64 exec, exec, s[20:21]
	s_cbranch_execnz .LBB24_10
; %bb.11:                               ;   in Loop: Header=BB24_8 Depth=1
	s_or_b64 exec, exec, s[20:21]
.LBB24_12:                              ;   in Loop: Header=BB24_8 Depth=1
	s_or_b64 exec, exec, s[18:19]
	s_and_b64 vcc, exec, s[26:27]
	s_cbranch_vccz .LBB24_19
; %bb.13:                               ;   in Loop: Header=BB24_8 Depth=1
	v_cmp_ne_u32_e32 vcc, 63, v20
	v_addc_co_u32_e32 v8, vcc, 0, v19, vcc
	v_lshlrev_b32_e32 v11, 2, v8
	ds_bpermute_b32 v8, v11, v2
	ds_bpermute_b32 v9, v11, v3
	;; [unrolled: 1-line block ×4, first 2 shown]
	v_cmp_gt_u32_e32 vcc, 62, v20
	v_cndmask_b32_e64 v12, 0, 2, vcc
	s_waitcnt lgkmcnt(2)
	v_add_f64 v[8:9], v[2:3], v[8:9]
	v_add_lshl_u32 v15, v12, v19, 2
	s_waitcnt lgkmcnt(0)
	v_add_f64 v[10:11], v[4:5], v[10:11]
	v_cmp_gt_u32_e32 vcc, 60, v20
	ds_bpermute_b32 v12, v15, v8
	ds_bpermute_b32 v13, v15, v9
	ds_bpermute_b32 v14, v15, v10
	ds_bpermute_b32 v15, v15, v11
	s_waitcnt lgkmcnt(2)
	v_add_f64 v[8:9], v[8:9], v[12:13]
	v_cndmask_b32_e64 v12, 0, 4, vcc
	s_waitcnt lgkmcnt(0)
	v_add_f64 v[10:11], v[10:11], v[14:15]
	v_add_lshl_u32 v15, v12, v19, 2
	v_cmp_gt_u32_e32 vcc, 56, v20
	ds_bpermute_b32 v12, v15, v8
	ds_bpermute_b32 v13, v15, v9
	ds_bpermute_b32 v14, v15, v10
	ds_bpermute_b32 v15, v15, v11
	s_waitcnt lgkmcnt(2)
	v_add_f64 v[8:9], v[8:9], v[12:13]
	v_cndmask_b32_e64 v12, 0, 8, vcc
	s_waitcnt lgkmcnt(0)
	v_add_f64 v[10:11], v[10:11], v[14:15]
	v_add_lshl_u32 v15, v12, v19, 2
	;; [unrolled: 11-line block ×3, first 2 shown]
	ds_bpermute_b32 v12, v15, v8
	ds_bpermute_b32 v13, v15, v9
	;; [unrolled: 1-line block ×4, first 2 shown]
	s_waitcnt lgkmcnt(2)
	v_add_f64 v[8:9], v[8:9], v[12:13]
	s_waitcnt lgkmcnt(0)
	v_add_f64 v[10:11], v[10:11], v[14:15]
	ds_bpermute_b32 v12, v21, v8
	ds_bpermute_b32 v13, v21, v9
	ds_bpermute_b32 v14, v21, v10
	ds_bpermute_b32 v15, v21, v11
	s_waitcnt lgkmcnt(2)
	v_add_f64 v[8:9], v[8:9], v[12:13]
	s_waitcnt lgkmcnt(0)
	v_add_f64 v[10:11], v[10:11], v[14:15]
	s_and_saveexec_b64 s[6:7], s[4:5]
; %bb.14:                               ;   in Loop: Header=BB24_8 Depth=1
	ds_write2_b64 v18, v[8:9], v[10:11] offset1:1
; %bb.15:                               ;   in Loop: Header=BB24_8 Depth=1
	s_or_b64 exec, exec, s[6:7]
	s_mov_b64 s[18:19], 0
	s_mov_b64 s[6:7], 0
	s_waitcnt vmcnt(0) lgkmcnt(0)
	s_barrier
                                        ; implicit-def: $vgpr12_vgpr13
                                        ; implicit-def: $vgpr14_vgpr15
	s_and_saveexec_b64 s[20:21], s[8:9]
	s_xor_b64 s[20:21], exec, s[20:21]
	s_cbranch_execz .LBB24_17
; %bb.16:                               ;   in Loop: Header=BB24_8 Depth=1
	ds_read_b128 v[12:15], v17 offset:32784
	ds_read_b128 v[22:25], v17 offset:32800
	s_mov_b64 s[6:7], exec
	s_waitcnt lgkmcnt(1)
	v_add_f64 v[8:9], v[8:9], v[12:13]
	v_add_f64 v[10:11], v[10:11], v[14:15]
	s_waitcnt lgkmcnt(0)
	v_add_f64 v[22:23], v[8:9], v[22:23]
	v_add_f64 v[24:25], v[10:11], v[24:25]
	ds_read_b128 v[8:11], v17 offset:32816
	ds_read_b128 v[12:15], v17 offset:32832
	s_waitcnt lgkmcnt(1)
	v_add_f64 v[8:9], v[22:23], v[8:9]
	v_add_f64 v[10:11], v[24:25], v[10:11]
	s_waitcnt lgkmcnt(0)
	v_add_f64 v[22:23], v[8:9], v[12:13]
	v_add_f64 v[24:25], v[10:11], v[14:15]
	ds_read_b128 v[8:11], v17 offset:32848
	ds_read_b128 v[12:15], v17 offset:32864
	;; [unrolled: 8-line block ×6, first 2 shown]
	s_waitcnt lgkmcnt(1)
	v_add_f64 v[8:9], v[22:23], v[8:9]
	v_add_f64 v[10:11], v[24:25], v[10:11]
	s_waitcnt lgkmcnt(0)
	v_add_f64 v[12:13], v[8:9], v[12:13]
	v_add_f64 v[22:23], v[10:11], v[14:15]
	ds_read_b128 v[8:11], v17 offset:33008
	s_waitcnt lgkmcnt(0)
	v_add_f64 v[14:15], v[12:13], v[8:9]
	v_add_f64 v[12:13], v[22:23], v[10:11]
.LBB24_17:                              ;   in Loop: Header=BB24_8 Depth=1
	s_or_b64 exec, exec, s[20:21]
	s_and_b64 vcc, exec, s[18:19]
	s_cbranch_vccnz .LBB24_20
.LBB24_18:                              ;   in Loop: Header=BB24_8 Depth=1
	v_mov_b32_e32 v4, v12
	v_mov_b32_e32 v2, v14
	;; [unrolled: 1-line block ×4, first 2 shown]
	s_and_saveexec_b64 s[18:19], s[6:7]
	s_cbranch_execnz .LBB24_21
	s_branch .LBB24_22
.LBB24_19:                              ;   in Loop: Header=BB24_8 Depth=1
	s_mov_b64 s[6:7], 0
                                        ; implicit-def: $vgpr12_vgpr13
                                        ; implicit-def: $vgpr14_vgpr15
	s_cbranch_execz .LBB24_18
.LBB24_20:                              ;   in Loop: Header=BB24_8 Depth=1
	s_andn2_b64 s[6:7], s[6:7], exec
	s_and_b64 s[18:19], s[8:9], exec
	s_or_b64 s[6:7], s[6:7], s[18:19]
	s_and_saveexec_b64 s[18:19], s[6:7]
.LBB24_21:                              ;   in Loop: Header=BB24_8 Depth=1
	ds_write_b128 v17, v[2:5] offset:32768
.LBB24_22:                              ;   in Loop: Header=BB24_8 Depth=1
	s_or_b64 exec, exec, s[18:19]
	s_waitcnt vmcnt(0) lgkmcnt(0)
	s_barrier
	s_and_saveexec_b64 s[6:7], s[0:1]
	s_cbranch_execz .LBB24_7
; %bb.23:                               ;   in Loop: Header=BB24_8 Depth=1
	global_load_dwordx4 v[8:11], v17, s[24:25]
	ds_read_b128 v[2:5], v17 offset:32768
	s_mov_b64 s[18:19], 0
	s_waitcnt vmcnt(0) lgkmcnt(0)
	v_mul_f64 v[12:13], v[10:11], v[4:5]
	v_mul_f64 v[10:11], v[10:11], v[2:3]
	v_fma_f64 v[2:3], v[2:3], -v[8:9], -v[12:13]
	v_fma_f64 v[4:5], v[8:9], v[4:5], -v[10:11]
	v_mov_b32_e32 v9, v7
	v_mov_b32_e32 v11, v1
	;; [unrolled: 1-line block ×5, first 2 shown]
.LBB24_24:                              ;   Parent Loop BB24_8 Depth=1
                                        ; =>  This Inner Loop Header: Depth=2
	global_load_dwordx4 v[22:25], v[8:9], off offset:-8
	ds_read_b128 v[26:29], v12
	v_add_co_u32_e32 v10, vcc, s22, v10
	v_addc_co_u32_e32 v11, vcc, 0, v11, vcc
	s_waitcnt lgkmcnt(0)
	v_mul_f64 v[13:14], v[4:5], v[28:29]
	v_mul_f64 v[28:29], v[2:3], v[28:29]
	v_cmp_le_i64_e32 vcc, s[12:13], v[10:11]
	v_add_u32_e32 v12, 0x4000, v12
	s_or_b64 s[18:19], vcc, s[18:19]
	v_fma_f64 v[13:14], v[2:3], v[26:27], -v[13:14]
	v_fma_f64 v[26:27], v[4:5], v[26:27], v[28:29]
	s_waitcnt vmcnt(0)
	v_add_f64 v[22:23], v[22:23], v[13:14]
	v_add_f64 v[24:25], v[26:27], v[24:25]
	global_store_dwordx4 v[8:9], v[22:25], off offset:-8
	v_add_co_u32_e32 v8, vcc, 0x4000, v8
	v_addc_co_u32_e32 v9, vcc, 0, v9, vcc
	s_andn2_b64 exec, exec, s[18:19]
	s_cbranch_execnz .LBB24_24
	s_branch .LBB24_7
.LBB24_25:
	s_endpgm
	.section	.rodata,"a",@progbits
	.p2align	6, 0x0
	.amdhsa_kernel _ZN9rocsolver6v33100L22larf_left_kernel_smallILi1024E19rocblas_complex_numIdElPS3_EEvT1_S5_T2_lS5_lPKT0_lS6_lS5_l
		.amdhsa_group_segment_fixed_size 49152
		.amdhsa_private_segment_fixed_size 0
		.amdhsa_kernarg_size 96
		.amdhsa_user_sgpr_count 6
		.amdhsa_user_sgpr_private_segment_buffer 1
		.amdhsa_user_sgpr_dispatch_ptr 0
		.amdhsa_user_sgpr_queue_ptr 0
		.amdhsa_user_sgpr_kernarg_segment_ptr 1
		.amdhsa_user_sgpr_dispatch_id 0
		.amdhsa_user_sgpr_flat_scratch_init 0
		.amdhsa_user_sgpr_private_segment_size 0
		.amdhsa_uses_dynamic_stack 0
		.amdhsa_system_sgpr_private_segment_wavefront_offset 0
		.amdhsa_system_sgpr_workgroup_id_x 1
		.amdhsa_system_sgpr_workgroup_id_y 1
		.amdhsa_system_sgpr_workgroup_id_z 0
		.amdhsa_system_sgpr_workgroup_info 0
		.amdhsa_system_vgpr_workitem_id 0
		.amdhsa_next_free_vgpr 49
		.amdhsa_next_free_sgpr 98
		.amdhsa_reserve_vcc 1
		.amdhsa_reserve_flat_scratch 0
		.amdhsa_float_round_mode_32 0
		.amdhsa_float_round_mode_16_64 0
		.amdhsa_float_denorm_mode_32 3
		.amdhsa_float_denorm_mode_16_64 3
		.amdhsa_dx10_clamp 1
		.amdhsa_ieee_mode 1
		.amdhsa_fp16_overflow 0
		.amdhsa_exception_fp_ieee_invalid_op 0
		.amdhsa_exception_fp_denorm_src 0
		.amdhsa_exception_fp_ieee_div_zero 0
		.amdhsa_exception_fp_ieee_overflow 0
		.amdhsa_exception_fp_ieee_underflow 0
		.amdhsa_exception_fp_ieee_inexact 0
		.amdhsa_exception_int_div_zero 0
	.end_amdhsa_kernel
	.section	.text._ZN9rocsolver6v33100L22larf_left_kernel_smallILi1024E19rocblas_complex_numIdElPS3_EEvT1_S5_T2_lS5_lPKT0_lS6_lS5_l,"axG",@progbits,_ZN9rocsolver6v33100L22larf_left_kernel_smallILi1024E19rocblas_complex_numIdElPS3_EEvT1_S5_T2_lS5_lPKT0_lS6_lS5_l,comdat
.Lfunc_end24:
	.size	_ZN9rocsolver6v33100L22larf_left_kernel_smallILi1024E19rocblas_complex_numIdElPS3_EEvT1_S5_T2_lS5_lPKT0_lS6_lS5_l, .Lfunc_end24-_ZN9rocsolver6v33100L22larf_left_kernel_smallILi1024E19rocblas_complex_numIdElPS3_EEvT1_S5_T2_lS5_lPKT0_lS6_lS5_l
                                        ; -- End function
	.set _ZN9rocsolver6v33100L22larf_left_kernel_smallILi1024E19rocblas_complex_numIdElPS3_EEvT1_S5_T2_lS5_lPKT0_lS6_lS5_l.num_vgpr, 30
	.set _ZN9rocsolver6v33100L22larf_left_kernel_smallILi1024E19rocblas_complex_numIdElPS3_EEvT1_S5_T2_lS5_lPKT0_lS6_lS5_l.num_agpr, 0
	.set _ZN9rocsolver6v33100L22larf_left_kernel_smallILi1024E19rocblas_complex_numIdElPS3_EEvT1_S5_T2_lS5_lPKT0_lS6_lS5_l.numbered_sgpr, 30
	.set _ZN9rocsolver6v33100L22larf_left_kernel_smallILi1024E19rocblas_complex_numIdElPS3_EEvT1_S5_T2_lS5_lPKT0_lS6_lS5_l.num_named_barrier, 0
	.set _ZN9rocsolver6v33100L22larf_left_kernel_smallILi1024E19rocblas_complex_numIdElPS3_EEvT1_S5_T2_lS5_lPKT0_lS6_lS5_l.private_seg_size, 0
	.set _ZN9rocsolver6v33100L22larf_left_kernel_smallILi1024E19rocblas_complex_numIdElPS3_EEvT1_S5_T2_lS5_lPKT0_lS6_lS5_l.uses_vcc, 1
	.set _ZN9rocsolver6v33100L22larf_left_kernel_smallILi1024E19rocblas_complex_numIdElPS3_EEvT1_S5_T2_lS5_lPKT0_lS6_lS5_l.uses_flat_scratch, 0
	.set _ZN9rocsolver6v33100L22larf_left_kernel_smallILi1024E19rocblas_complex_numIdElPS3_EEvT1_S5_T2_lS5_lPKT0_lS6_lS5_l.has_dyn_sized_stack, 0
	.set _ZN9rocsolver6v33100L22larf_left_kernel_smallILi1024E19rocblas_complex_numIdElPS3_EEvT1_S5_T2_lS5_lPKT0_lS6_lS5_l.has_recursion, 0
	.set _ZN9rocsolver6v33100L22larf_left_kernel_smallILi1024E19rocblas_complex_numIdElPS3_EEvT1_S5_T2_lS5_lPKT0_lS6_lS5_l.has_indirect_call, 0
	.section	.AMDGPU.csdata,"",@progbits
; Kernel info:
; codeLenInByte = 1976
; TotalNumSgprs: 34
; NumVgprs: 30
; ScratchSize: 0
; MemoryBound: 0
; FloatMode: 240
; IeeeMode: 1
; LDSByteSize: 49152 bytes/workgroup (compile time only)
; SGPRBlocks: 12
; VGPRBlocks: 12
; NumSGPRsForWavesPerEU: 102
; NumVGPRsForWavesPerEU: 49
; Occupancy: 4
; WaveLimiterHint : 0
; COMPUTE_PGM_RSRC2:SCRATCH_EN: 0
; COMPUTE_PGM_RSRC2:USER_SGPR: 6
; COMPUTE_PGM_RSRC2:TRAP_HANDLER: 0
; COMPUTE_PGM_RSRC2:TGID_X_EN: 1
; COMPUTE_PGM_RSRC2:TGID_Y_EN: 1
; COMPUTE_PGM_RSRC2:TGID_Z_EN: 0
; COMPUTE_PGM_RSRC2:TIDIG_COMP_CNT: 0
	.section	.text._ZN9rocsolver6v33100L23larf_right_kernel_smallILi64E19rocblas_complex_numIdElPS3_EEvT1_S5_T2_lS5_lPKT0_lS6_lS5_l,"axG",@progbits,_ZN9rocsolver6v33100L23larf_right_kernel_smallILi64E19rocblas_complex_numIdElPS3_EEvT1_S5_T2_lS5_lPKT0_lS6_lS5_l,comdat
	.globl	_ZN9rocsolver6v33100L23larf_right_kernel_smallILi64E19rocblas_complex_numIdElPS3_EEvT1_S5_T2_lS5_lPKT0_lS6_lS5_l ; -- Begin function _ZN9rocsolver6v33100L23larf_right_kernel_smallILi64E19rocblas_complex_numIdElPS3_EEvT1_S5_T2_lS5_lPKT0_lS6_lS5_l
	.p2align	8
	.type	_ZN9rocsolver6v33100L23larf_right_kernel_smallILi64E19rocblas_complex_numIdElPS3_EEvT1_S5_T2_lS5_lPKT0_lS6_lS5_l,@function
_ZN9rocsolver6v33100L23larf_right_kernel_smallILi64E19rocblas_complex_numIdElPS3_EEvT1_S5_T2_lS5_lPKT0_lS6_lS5_l: ; @_ZN9rocsolver6v33100L23larf_right_kernel_smallILi64E19rocblas_complex_numIdElPS3_EEvT1_S5_T2_lS5_lPKT0_lS6_lS5_l
; %bb.0:
	s_load_dwordx16 s[8:23], s[4:5], 0x0
	s_mov_b32 s24, s7
	s_mov_b64 s[26:27], 0
	s_waitcnt lgkmcnt(0)
	v_cmp_gt_i64_e64 s[0:1], s[16:17], 0
	s_and_b64 vcc, exec, s[0:1]
	s_cbranch_vccnz .LBB25_2
; %bb.1:
	s_sub_u32 s0, 1, s10
	s_subb_u32 s1, 0, s11
	s_mul_i32 s1, s16, s1
	s_mul_hi_u32 s2, s16, s0
	s_add_i32 s1, s2, s1
	s_mul_i32 s2, s17, s0
	s_add_i32 s27, s1, s2
	s_mul_i32 s26, s16, s0
.LBB25_2:
	v_mov_b32_e32 v1, 0
	v_cmp_gt_i64_e64 s[0:1], s[10:11], v[0:1]
	v_lshlrev_b32_e32 v14, 4, v0
	s_and_saveexec_b64 s[2:3], s[0:1]
	s_cbranch_execz .LBB25_5
; %bb.3:
	v_mad_u64_u32 v[2:3], s[28:29], s16, v0, 0
	s_mul_i32 s7, s19, s6
	s_mul_hi_u32 s19, s18, s6
	s_add_i32 s19, s19, s7
	s_mul_i32 s18, s18, s6
	s_lshl_b64 s[18:19], s[18:19], 4
	s_lshl_b64 s[26:27], s[26:27], 4
	;; [unrolled: 1-line block ×3, first 2 shown]
	v_mad_u64_u32 v[3:4], s[28:29], s17, v0, v[3:4]
	s_add_u32 s7, s12, s14
	s_addc_u32 s12, s13, s15
	s_add_u32 s7, s7, s26
	s_addc_u32 s12, s12, s27
	v_lshlrev_b64 v[2:3], 4, v[2:3]
	s_add_u32 s7, s7, s18
	s_addc_u32 s12, s12, s19
	v_mov_b32_e32 v4, s12
	v_add_co_u32_e32 v2, vcc, s7, v2
	v_addc_co_u32_e32 v3, vcc, v4, v3, vcc
	s_lshl_b64 s[12:13], s[16:17], 10
	v_mov_b32_e32 v5, v1
	v_lshlrev_b32_e32 v6, 4, v0
	s_mov_b64 s[14:15], 0
	v_mov_b32_e32 v7, s13
	v_mov_b32_e32 v4, v0
.LBB25_4:                               ; =>This Inner Loop Header: Depth=1
	global_load_dwordx4 v[8:11], v[2:3], off
	v_add_co_u32_e32 v4, vcc, 64, v4
	v_addc_co_u32_e32 v5, vcc, 0, v5, vcc
	v_add_co_u32_e32 v2, vcc, s12, v2
	v_addc_co_u32_e32 v3, vcc, v3, v7, vcc
	v_cmp_le_i64_e32 vcc, s[10:11], v[4:5]
	s_or_b64 s[14:15], vcc, s[14:15]
	s_waitcnt vmcnt(0)
	ds_write2_b64 v6, v[8:9], v[10:11] offset1:1
	v_add_u32_e32 v6, 0x400, v6
	s_andn2_b64 exec, exec, s[14:15]
	s_cbranch_execnz .LBB25_4
.LBB25_5:
	s_or_b64 exec, exec, s[2:3]
	s_mov_b32 s25, 0
	v_mov_b32_e32 v2, s24
	v_mov_b32_e32 v3, s25
	v_cmp_le_i64_e32 vcc, s[8:9], v[2:3]
	s_waitcnt lgkmcnt(0)
	; wave barrier
	s_cbranch_vccnz .LBB25_23
; %bb.6:
	s_load_dwordx8 s[12:19], s[4:5], 0x40
	s_mul_i32 s7, s23, s6
	v_mov_b32_e32 v8, s8
	v_mov_b32_e32 v17, 0
	;; [unrolled: 1-line block ×3, first 2 shown]
	s_waitcnt lgkmcnt(0)
	s_mul_i32 s3, s19, s6
	s_mul_hi_u32 s4, s18, s6
	s_mul_i32 s2, s18, s6
	s_add_i32 s3, s4, s3
	s_lshl_b64 s[4:5], s[2:3], 4
	s_add_u32 s2, s12, s4
	s_addc_u32 s3, s13, s5
	s_lshl_b64 s[28:29], s[14:15], 4
	s_add_u32 s23, s2, s28
	s_mul_hi_u32 s2, s22, s6
	s_addc_u32 s26, s3, s29
	s_add_i32 s3, s2, s7
	s_mul_i32 s2, s22, s6
	v_mad_u64_u32 v[2:3], s[14:15], s16, v0, 0
	s_lshl_b64 s[2:3], s[2:3], 4
	s_add_u32 s6, s20, s2
	s_addc_u32 s7, s21, s3
	s_cmp_gt_i32 s10, 1
	v_mad_u64_u32 v[3:4], s[20:21], s17, v0, v[3:4]
	s_cselect_b64 s[14:15], -1, 0
	s_lshl_b32 s20, s16, 6
	s_lshl_b64 s[30:31], s[24:25], 4
	s_add_u32 s12, s12, s30
	s_addc_u32 s13, s13, s31
	s_add_u32 s12, s12, s28
	s_addc_u32 s13, s13, s29
	v_lshlrev_b64 v[2:3], 4, v[2:3]
	s_add_u32 s4, s12, s4
	s_addc_u32 s5, s13, s5
	v_mov_b32_e32 v5, s5
	v_add_co_u32_e32 v2, vcc, s4, v2
	v_mul_lo_u32 v15, v0, s16
	v_addc_co_u32_e32 v3, vcc, v5, v3, vcc
	v_add_co_u32_e32 v6, vcc, 8, v2
	v_mbcnt_lo_u32_b32 v2, -1, 0
	v_lshrrev_b32_e32 v4, 2, v0
	v_mbcnt_hi_u32_b32 v18, -1, v2
	v_mov_b32_e32 v2, 0x80
	v_cmp_gt_i32_e64 s[2:3], s10, v0
	v_cmp_eq_u32_e64 s[18:19], 0, v0
	v_addc_co_u32_e32 v7, vcc, 0, v3, vcc
	s_lshl_b64 s[12:13], s[16:17], 10
	v_or_b32_e32 v16, 0x8000, v4
	v_and_b32_e32 v19, 63, v18
	v_lshl_or_b32 v20, v18, 2, v2
	s_branch .LBB25_8
.LBB25_7:                               ;   in Loop: Header=BB25_8 Depth=1
	s_or_b64 exec, exec, s[4:5]
	s_add_u32 s24, s24, 64
	s_addc_u32 s25, s25, 0
	v_add_co_u32_e32 v6, vcc, 0x400, v6
	v_cmp_ge_i64_e64 s[4:5], s[24:25], v[8:9]
	v_addc_co_u32_e32 v7, vcc, 0, v7, vcc
	s_and_b64 vcc, exec, s[4:5]
	s_cbranch_vccnz .LBB25_23
.LBB25_8:                               ; =>This Loop Header: Depth=1
                                        ;     Child Loop BB25_10 Depth 2
                                        ;     Child Loop BB25_22 Depth 2
	v_mov_b32_e32 v4, 0
	v_mov_b32_e32 v2, 0
	;; [unrolled: 1-line block ×4, first 2 shown]
	s_and_saveexec_b64 s[4:5], s[2:3]
	s_cbranch_execz .LBB25_12
; %bb.9:                                ;   in Loop: Header=BB25_8 Depth=1
	s_lshl_b64 s[8:9], s[24:25], 4
	s_add_u32 s16, s23, s8
	s_addc_u32 s17, s26, s9
	v_mov_b32_e32 v4, 0
	v_mov_b32_e32 v2, 0
	;; [unrolled: 1-line block ×3, first 2 shown]
	s_mov_b64 s[8:9], 0
	v_mov_b32_e32 v12, s17
	v_mov_b32_e32 v10, v15
	;; [unrolled: 1-line block ×5, first 2 shown]
.LBB25_10:                              ;   Parent Loop BB25_8 Depth=1
                                        ; =>  This Inner Loop Header: Depth=2
	v_ashrrev_i32_e32 v11, 31, v10
	v_lshlrev_b64 v[22:23], 4, v[10:11]
	ds_read_b128 v[26:29], v13
	v_add_co_u32_e32 v22, vcc, s16, v22
	v_addc_co_u32_e32 v23, vcc, v12, v23, vcc
	global_load_dwordx4 v[22:25], v[22:23], off
	v_add_u32_e32 v21, 64, v21
	v_cmp_le_i32_e32 vcc, s10, v21
	v_add_u32_e32 v13, 0x400, v13
	s_or_b64 s[8:9], vcc, s[8:9]
	v_add_u32_e32 v10, s20, v10
	s_waitcnt vmcnt(0) lgkmcnt(0)
	v_mul_f64 v[30:31], v[24:25], v[28:29]
	v_mul_f64 v[28:29], v[22:23], v[28:29]
	v_fma_f64 v[22:23], v[22:23], v[26:27], -v[30:31]
	v_fma_f64 v[24:25], v[24:25], v[26:27], v[28:29]
	v_add_f64 v[2:3], v[2:3], v[22:23]
	v_add_f64 v[4:5], v[4:5], v[24:25]
	s_andn2_b64 exec, exec, s[8:9]
	s_cbranch_execnz .LBB25_10
; %bb.11:                               ;   in Loop: Header=BB25_8 Depth=1
	s_or_b64 exec, exec, s[8:9]
.LBB25_12:                              ;   in Loop: Header=BB25_8 Depth=1
	s_or_b64 exec, exec, s[4:5]
	s_and_b64 vcc, exec, s[14:15]
	s_cbranch_vccz .LBB25_17
; %bb.13:                               ;   in Loop: Header=BB25_8 Depth=1
	v_cmp_ne_u32_e32 vcc, 63, v19
	v_addc_co_u32_e32 v10, vcc, 0, v18, vcc
	v_lshlrev_b32_e32 v13, 2, v10
	ds_bpermute_b32 v10, v13, v2
	ds_bpermute_b32 v11, v13, v3
	ds_bpermute_b32 v12, v13, v4
	ds_bpermute_b32 v13, v13, v5
	v_cmp_gt_u32_e32 vcc, 62, v19
	v_cndmask_b32_e64 v21, 0, 2, vcc
	s_waitcnt lgkmcnt(2)
	v_add_f64 v[10:11], v[2:3], v[10:11]
	v_add_lshl_u32 v24, v21, v18, 2
	s_waitcnt lgkmcnt(0)
	v_add_f64 v[12:13], v[4:5], v[12:13]
	v_cmp_gt_u32_e32 vcc, 60, v19
	ds_bpermute_b32 v21, v24, v10
	ds_bpermute_b32 v22, v24, v11
	ds_bpermute_b32 v23, v24, v12
	ds_bpermute_b32 v24, v24, v13
	s_waitcnt lgkmcnt(2)
	v_add_f64 v[10:11], v[10:11], v[21:22]
	v_cndmask_b32_e64 v21, 0, 4, vcc
	s_waitcnt lgkmcnt(0)
	v_add_f64 v[12:13], v[12:13], v[23:24]
	v_add_lshl_u32 v24, v21, v18, 2
	v_cmp_gt_u32_e32 vcc, 56, v19
	ds_bpermute_b32 v21, v24, v10
	ds_bpermute_b32 v22, v24, v11
	ds_bpermute_b32 v23, v24, v12
	ds_bpermute_b32 v24, v24, v13
	s_waitcnt lgkmcnt(2)
	v_add_f64 v[10:11], v[10:11], v[21:22]
	v_cndmask_b32_e64 v21, 0, 8, vcc
	s_waitcnt lgkmcnt(0)
	v_add_f64 v[12:13], v[12:13], v[23:24]
	v_add_lshl_u32 v24, v21, v18, 2
	;; [unrolled: 11-line block ×3, first 2 shown]
	ds_bpermute_b32 v21, v24, v10
	ds_bpermute_b32 v22, v24, v11
	;; [unrolled: 1-line block ×4, first 2 shown]
	s_waitcnt lgkmcnt(2)
	v_add_f64 v[10:11], v[10:11], v[21:22]
	s_waitcnt lgkmcnt(0)
	v_add_f64 v[12:13], v[12:13], v[23:24]
	ds_bpermute_b32 v21, v20, v10
	ds_bpermute_b32 v22, v20, v11
	;; [unrolled: 1-line block ×4, first 2 shown]
	s_waitcnt lgkmcnt(2)
	v_add_f64 v[10:11], v[10:11], v[21:22]
	s_waitcnt lgkmcnt(0)
	v_add_f64 v[12:13], v[12:13], v[23:24]
	s_and_saveexec_b64 s[4:5], s[18:19]
; %bb.14:                               ;   in Loop: Header=BB25_8 Depth=1
	ds_write2_b64 v16, v[10:11], v[12:13] offset1:1
; %bb.15:                               ;   in Loop: Header=BB25_8 Depth=1
	s_or_b64 exec, exec, s[4:5]
	s_waitcnt lgkmcnt(0)
	; wave barrier
	s_mov_b64 s[4:5], s[18:19]
.LBB25_16:                              ;   in Loop: Header=BB25_8 Depth=1
	v_mov_b32_e32 v4, v12
	v_mov_b32_e32 v2, v10
	;; [unrolled: 1-line block ×4, first 2 shown]
	s_and_saveexec_b64 s[8:9], s[4:5]
	s_cbranch_execnz .LBB25_19
	s_branch .LBB25_20
.LBB25_17:                              ;   in Loop: Header=BB25_8 Depth=1
	s_mov_b64 s[4:5], 0
                                        ; implicit-def: $vgpr12_vgpr13
                                        ; implicit-def: $vgpr10_vgpr11
	s_cbranch_execz .LBB25_16
; %bb.18:                               ;   in Loop: Header=BB25_8 Depth=1
	s_andn2_b64 s[4:5], s[4:5], exec
	s_and_b64 s[8:9], s[18:19], exec
	s_or_b64 s[4:5], s[4:5], s[8:9]
	s_and_saveexec_b64 s[8:9], s[4:5]
.LBB25_19:                              ;   in Loop: Header=BB25_8 Depth=1
	ds_write_b128 v17, v[2:5] offset:32768
.LBB25_20:                              ;   in Loop: Header=BB25_8 Depth=1
	s_or_b64 exec, exec, s[8:9]
	s_waitcnt lgkmcnt(0)
	; wave barrier
	s_and_saveexec_b64 s[4:5], s[0:1]
	s_cbranch_execz .LBB25_7
; %bb.21:                               ;   in Loop: Header=BB25_8 Depth=1
	global_load_dwordx4 v[2:5], v17, s[6:7]
	ds_read_b128 v[10:13], v17 offset:32768
	s_mov_b64 s[8:9], 0
	s_waitcnt vmcnt(0) lgkmcnt(0)
	v_mul_f64 v[21:22], v[2:3], v[10:11]
	v_mul_f64 v[23:24], v[2:3], v[12:13]
	v_fma_f64 v[2:3], v[4:5], v[12:13], -v[21:22]
	v_fma_f64 v[4:5], v[10:11], -v[4:5], -v[23:24]
	v_mov_b32_e32 v11, v7
	v_mov_b32_e32 v13, v1
	;; [unrolled: 1-line block ×5, first 2 shown]
.LBB25_22:                              ;   Parent Loop BB25_8 Depth=1
                                        ; =>  This Inner Loop Header: Depth=2
	global_load_dwordx4 v[22:25], v[10:11], off offset:-8
	ds_read_b128 v[26:29], v21
	v_add_co_u32_e32 v12, vcc, 64, v12
	v_addc_co_u32_e32 v13, vcc, 0, v13, vcc
	s_waitcnt lgkmcnt(0)
	v_mul_f64 v[30:31], v[4:5], v[28:29]
	v_mul_f64 v[28:29], v[2:3], v[28:29]
	v_cmp_le_i64_e32 vcc, s[10:11], v[12:13]
	v_add_u32_e32 v21, 0x400, v21
	s_or_b64 s[8:9], vcc, s[8:9]
	v_fma_f64 v[30:31], v[2:3], v[26:27], v[30:31]
	v_fma_f64 v[26:27], v[4:5], v[26:27], -v[28:29]
	s_waitcnt vmcnt(0)
	v_add_f64 v[22:23], v[22:23], v[30:31]
	v_add_f64 v[24:25], v[26:27], v[24:25]
	v_mov_b32_e32 v26, s13
	global_store_dwordx4 v[10:11], v[22:25], off offset:-8
	v_add_co_u32_e32 v10, vcc, s12, v10
	v_addc_co_u32_e32 v11, vcc, v11, v26, vcc
	s_andn2_b64 exec, exec, s[8:9]
	s_cbranch_execnz .LBB25_22
	s_branch .LBB25_7
.LBB25_23:
	s_endpgm
	.section	.rodata,"a",@progbits
	.p2align	6, 0x0
	.amdhsa_kernel _ZN9rocsolver6v33100L23larf_right_kernel_smallILi64E19rocblas_complex_numIdElPS3_EEvT1_S5_T2_lS5_lPKT0_lS6_lS5_l
		.amdhsa_group_segment_fixed_size 32784
		.amdhsa_private_segment_fixed_size 0
		.amdhsa_kernarg_size 96
		.amdhsa_user_sgpr_count 6
		.amdhsa_user_sgpr_private_segment_buffer 1
		.amdhsa_user_sgpr_dispatch_ptr 0
		.amdhsa_user_sgpr_queue_ptr 0
		.amdhsa_user_sgpr_kernarg_segment_ptr 1
		.amdhsa_user_sgpr_dispatch_id 0
		.amdhsa_user_sgpr_flat_scratch_init 0
		.amdhsa_user_sgpr_private_segment_size 0
		.amdhsa_uses_dynamic_stack 0
		.amdhsa_system_sgpr_private_segment_wavefront_offset 0
		.amdhsa_system_sgpr_workgroup_id_x 1
		.amdhsa_system_sgpr_workgroup_id_y 1
		.amdhsa_system_sgpr_workgroup_id_z 0
		.amdhsa_system_sgpr_workgroup_info 0
		.amdhsa_system_vgpr_workitem_id 0
		.amdhsa_next_free_vgpr 129
		.amdhsa_next_free_sgpr 98
		.amdhsa_reserve_vcc 1
		.amdhsa_reserve_flat_scratch 0
		.amdhsa_float_round_mode_32 0
		.amdhsa_float_round_mode_16_64 0
		.amdhsa_float_denorm_mode_32 3
		.amdhsa_float_denorm_mode_16_64 3
		.amdhsa_dx10_clamp 1
		.amdhsa_ieee_mode 1
		.amdhsa_fp16_overflow 0
		.amdhsa_exception_fp_ieee_invalid_op 0
		.amdhsa_exception_fp_denorm_src 0
		.amdhsa_exception_fp_ieee_div_zero 0
		.amdhsa_exception_fp_ieee_overflow 0
		.amdhsa_exception_fp_ieee_underflow 0
		.amdhsa_exception_fp_ieee_inexact 0
		.amdhsa_exception_int_div_zero 0
	.end_amdhsa_kernel
	.section	.text._ZN9rocsolver6v33100L23larf_right_kernel_smallILi64E19rocblas_complex_numIdElPS3_EEvT1_S5_T2_lS5_lPKT0_lS6_lS5_l,"axG",@progbits,_ZN9rocsolver6v33100L23larf_right_kernel_smallILi64E19rocblas_complex_numIdElPS3_EEvT1_S5_T2_lS5_lPKT0_lS6_lS5_l,comdat
.Lfunc_end25:
	.size	_ZN9rocsolver6v33100L23larf_right_kernel_smallILi64E19rocblas_complex_numIdElPS3_EEvT1_S5_T2_lS5_lPKT0_lS6_lS5_l, .Lfunc_end25-_ZN9rocsolver6v33100L23larf_right_kernel_smallILi64E19rocblas_complex_numIdElPS3_EEvT1_S5_T2_lS5_lPKT0_lS6_lS5_l
                                        ; -- End function
	.set _ZN9rocsolver6v33100L23larf_right_kernel_smallILi64E19rocblas_complex_numIdElPS3_EEvT1_S5_T2_lS5_lPKT0_lS6_lS5_l.num_vgpr, 32
	.set _ZN9rocsolver6v33100L23larf_right_kernel_smallILi64E19rocblas_complex_numIdElPS3_EEvT1_S5_T2_lS5_lPKT0_lS6_lS5_l.num_agpr, 0
	.set _ZN9rocsolver6v33100L23larf_right_kernel_smallILi64E19rocblas_complex_numIdElPS3_EEvT1_S5_T2_lS5_lPKT0_lS6_lS5_l.numbered_sgpr, 32
	.set _ZN9rocsolver6v33100L23larf_right_kernel_smallILi64E19rocblas_complex_numIdElPS3_EEvT1_S5_T2_lS5_lPKT0_lS6_lS5_l.num_named_barrier, 0
	.set _ZN9rocsolver6v33100L23larf_right_kernel_smallILi64E19rocblas_complex_numIdElPS3_EEvT1_S5_T2_lS5_lPKT0_lS6_lS5_l.private_seg_size, 0
	.set _ZN9rocsolver6v33100L23larf_right_kernel_smallILi64E19rocblas_complex_numIdElPS3_EEvT1_S5_T2_lS5_lPKT0_lS6_lS5_l.uses_vcc, 1
	.set _ZN9rocsolver6v33100L23larf_right_kernel_smallILi64E19rocblas_complex_numIdElPS3_EEvT1_S5_T2_lS5_lPKT0_lS6_lS5_l.uses_flat_scratch, 0
	.set _ZN9rocsolver6v33100L23larf_right_kernel_smallILi64E19rocblas_complex_numIdElPS3_EEvT1_S5_T2_lS5_lPKT0_lS6_lS5_l.has_dyn_sized_stack, 0
	.set _ZN9rocsolver6v33100L23larf_right_kernel_smallILi64E19rocblas_complex_numIdElPS3_EEvT1_S5_T2_lS5_lPKT0_lS6_lS5_l.has_recursion, 0
	.set _ZN9rocsolver6v33100L23larf_right_kernel_smallILi64E19rocblas_complex_numIdElPS3_EEvT1_S5_T2_lS5_lPKT0_lS6_lS5_l.has_indirect_call, 0
	.section	.AMDGPU.csdata,"",@progbits
; Kernel info:
; codeLenInByte = 1532
; TotalNumSgprs: 36
; NumVgprs: 32
; ScratchSize: 0
; MemoryBound: 0
; FloatMode: 240
; IeeeMode: 1
; LDSByteSize: 32784 bytes/workgroup (compile time only)
; SGPRBlocks: 12
; VGPRBlocks: 32
; NumSGPRsForWavesPerEU: 102
; NumVGPRsForWavesPerEU: 129
; Occupancy: 1
; WaveLimiterHint : 0
; COMPUTE_PGM_RSRC2:SCRATCH_EN: 0
; COMPUTE_PGM_RSRC2:USER_SGPR: 6
; COMPUTE_PGM_RSRC2:TRAP_HANDLER: 0
; COMPUTE_PGM_RSRC2:TGID_X_EN: 1
; COMPUTE_PGM_RSRC2:TGID_Y_EN: 1
; COMPUTE_PGM_RSRC2:TGID_Z_EN: 0
; COMPUTE_PGM_RSRC2:TIDIG_COMP_CNT: 0
	.section	.text._ZN9rocsolver6v33100L23larf_right_kernel_smallILi128E19rocblas_complex_numIdElPS3_EEvT1_S5_T2_lS5_lPKT0_lS6_lS5_l,"axG",@progbits,_ZN9rocsolver6v33100L23larf_right_kernel_smallILi128E19rocblas_complex_numIdElPS3_EEvT1_S5_T2_lS5_lPKT0_lS6_lS5_l,comdat
	.globl	_ZN9rocsolver6v33100L23larf_right_kernel_smallILi128E19rocblas_complex_numIdElPS3_EEvT1_S5_T2_lS5_lPKT0_lS6_lS5_l ; -- Begin function _ZN9rocsolver6v33100L23larf_right_kernel_smallILi128E19rocblas_complex_numIdElPS3_EEvT1_S5_T2_lS5_lPKT0_lS6_lS5_l
	.p2align	8
	.type	_ZN9rocsolver6v33100L23larf_right_kernel_smallILi128E19rocblas_complex_numIdElPS3_EEvT1_S5_T2_lS5_lPKT0_lS6_lS5_l,@function
_ZN9rocsolver6v33100L23larf_right_kernel_smallILi128E19rocblas_complex_numIdElPS3_EEvT1_S5_T2_lS5_lPKT0_lS6_lS5_l: ; @_ZN9rocsolver6v33100L23larf_right_kernel_smallILi128E19rocblas_complex_numIdElPS3_EEvT1_S5_T2_lS5_lPKT0_lS6_lS5_l
; %bb.0:
	s_load_dwordx16 s[8:23], s[4:5], 0x0
	s_mov_b32 s24, s7
	s_mov_b64 s[2:3], 0
	s_waitcnt lgkmcnt(0)
	v_cmp_gt_i64_e64 s[0:1], s[16:17], 0
	s_and_b64 vcc, exec, s[0:1]
	s_cbranch_vccnz .LBB26_2
; %bb.1:
	s_sub_u32 s0, 1, s10
	s_subb_u32 s1, 0, s11
	s_mul_i32 s1, s16, s1
	s_mul_hi_u32 s2, s16, s0
	s_add_i32 s1, s2, s1
	s_mul_i32 s2, s17, s0
	s_add_i32 s3, s1, s2
	s_mul_i32 s2, s16, s0
.LBB26_2:
	v_mov_b32_e32 v1, 0
	v_cmp_gt_i64_e64 s[0:1], s[10:11], v[0:1]
	v_lshlrev_b32_e32 v18, 4, v0
	s_and_saveexec_b64 s[26:27], s[0:1]
	s_cbranch_execz .LBB26_5
; %bb.3:
	v_mad_u64_u32 v[2:3], s[28:29], s16, v0, 0
	s_mul_i32 s7, s19, s6
	s_mul_hi_u32 s19, s18, s6
	s_add_i32 s19, s19, s7
	s_mul_i32 s18, s18, s6
	s_lshl_b64 s[18:19], s[18:19], 4
	s_lshl_b64 s[2:3], s[2:3], 4
	;; [unrolled: 1-line block ×3, first 2 shown]
	v_mad_u64_u32 v[3:4], s[28:29], s17, v0, v[3:4]
	s_add_u32 s7, s12, s14
	s_addc_u32 s12, s13, s15
	s_add_u32 s2, s7, s2
	s_addc_u32 s3, s12, s3
	v_lshlrev_b64 v[2:3], 4, v[2:3]
	s_add_u32 s2, s2, s18
	s_addc_u32 s3, s3, s19
	v_mov_b32_e32 v4, s3
	v_add_co_u32_e32 v2, vcc, s2, v2
	v_addc_co_u32_e32 v3, vcc, v4, v3, vcc
	s_lshl_b64 s[12:13], s[16:17], 11
	v_mov_b32_e32 v5, v1
	v_lshlrev_b32_e32 v6, 4, v0
	s_mov_b64 s[14:15], 0
	v_mov_b32_e32 v7, s13
	v_mov_b32_e32 v4, v0
.LBB26_4:                               ; =>This Inner Loop Header: Depth=1
	global_load_dwordx4 v[8:11], v[2:3], off
	v_add_co_u32_e32 v4, vcc, 0x80, v4
	v_addc_co_u32_e32 v5, vcc, 0, v5, vcc
	v_cmp_le_i64_e32 vcc, s[10:11], v[4:5]
	v_add_co_u32_e64 v2, s[2:3], s12, v2
	v_addc_co_u32_e64 v3, s[2:3], v3, v7, s[2:3]
	s_or_b64 s[14:15], vcc, s[14:15]
	s_waitcnt vmcnt(0)
	ds_write2_b64 v6, v[8:9], v[10:11] offset1:1
	v_add_u32_e32 v6, 0x800, v6
	s_andn2_b64 exec, exec, s[14:15]
	s_cbranch_execnz .LBB26_4
.LBB26_5:
	s_or_b64 exec, exec, s[26:27]
	s_mov_b32 s25, 0
	v_mov_b32_e32 v2, s24
	v_mov_b32_e32 v3, s25
	v_cmp_le_i64_e32 vcc, s[8:9], v[2:3]
	s_waitcnt lgkmcnt(0)
	s_barrier
	s_cbranch_vccnz .LBB26_25
; %bb.6:
	s_load_dwordx8 s[12:19], s[4:5], 0x40
	s_mul_i32 s4, s23, s6
	v_and_b32_e32 v4, 63, v0
	v_lshrrev_b32_e32 v5, 2, v0
	v_mov_b32_e32 v8, s8
	s_waitcnt lgkmcnt(0)
	s_mul_i32 s3, s19, s6
	s_mul_hi_u32 s5, s18, s6
	s_mul_i32 s2, s18, s6
	s_add_i32 s3, s5, s3
	s_lshl_b64 s[28:29], s[2:3], 4
	s_add_u32 s2, s12, s28
	s_addc_u32 s3, s13, s29
	s_lshl_b64 s[30:31], s[14:15], 4
	s_add_u32 s23, s2, s30
	s_mul_hi_u32 s2, s22, s6
	s_addc_u32 s26, s3, s31
	s_add_i32 s3, s2, s4
	s_mul_i32 s2, s22, s6
	s_lshl_b64 s[2:3], s[2:3], 4
	s_add_u32 s14, s20, s2
	v_mad_u64_u32 v[2:3], s[4:5], s16, v0, 0
	s_addc_u32 s15, s21, s3
	s_cmp_gt_i32 s10, 1
	s_cselect_b64 s[18:19], -1, 0
	s_lshl_b32 s22, s16, 7
	s_lshl_b64 s[20:21], s[24:25], 4
	v_cmp_eq_u32_e64 s[4:5], 0, v4
	v_mad_u64_u32 v[3:4], s[6:7], s17, v0, v[3:4]
	s_add_u32 s12, s12, s20
	s_addc_u32 s13, s13, s21
	s_add_u32 s12, s12, s30
	s_addc_u32 s13, s13, s31
	v_lshlrev_b64 v[2:3], 4, v[2:3]
	s_add_u32 s12, s12, s28
	s_addc_u32 s13, s13, s29
	v_mov_b32_e32 v4, s13
	v_add_co_u32_e32 v2, vcc, s12, v2
	v_mul_lo_u32 v19, v0, s16
	v_addc_co_u32_e32 v3, vcc, v4, v3, vcc
	v_add_co_u32_e32 v6, vcc, 8, v2
	v_mbcnt_lo_u32_b32 v2, -1, 0
	v_mbcnt_hi_u32_b32 v22, -1, v2
	v_mov_b32_e32 v2, 0x80
	v_cmp_gt_i32_e64 s[2:3], s10, v0
	v_cmp_eq_u32_e64 s[6:7], 0, v0
	v_addc_co_u32_e32 v7, vcc, 0, v3, vcc
	s_lshl_b64 s[12:13], s[16:17], 11
	s_movk_i32 s27, 0x80
	v_or_b32_e32 v20, 0x8000, v5
	v_mov_b32_e32 v21, 0
	v_mov_b32_e32 v9, s9
	v_and_b32_e32 v23, 63, v22
	v_lshl_or_b32 v24, v22, 2, v2
	s_branch .LBB26_8
.LBB26_7:                               ;   in Loop: Header=BB26_8 Depth=1
	s_or_b64 exec, exec, s[8:9]
	s_add_u32 s24, s24, 64
	s_addc_u32 s25, s25, 0
	v_add_co_u32_e32 v6, vcc, 0x400, v6
	v_cmp_ge_i64_e64 s[8:9], s[24:25], v[8:9]
	v_addc_co_u32_e32 v7, vcc, 0, v7, vcc
	s_and_b64 vcc, exec, s[8:9]
	s_cbranch_vccnz .LBB26_25
.LBB26_8:                               ; =>This Loop Header: Depth=1
                                        ;     Child Loop BB26_10 Depth 2
                                        ;     Child Loop BB26_24 Depth 2
	v_mov_b32_e32 v4, 0
	v_mov_b32_e32 v2, 0
	;; [unrolled: 1-line block ×4, first 2 shown]
	s_and_saveexec_b64 s[8:9], s[2:3]
	s_cbranch_execz .LBB26_12
; %bb.9:                                ;   in Loop: Header=BB26_8 Depth=1
	s_lshl_b64 s[16:17], s[24:25], 4
	s_add_u32 s20, s23, s16
	s_addc_u32 s21, s26, s17
	v_mov_b32_e32 v4, 0
	v_mov_b32_e32 v2, 0
	;; [unrolled: 1-line block ×3, first 2 shown]
	s_mov_b64 s[16:17], 0
	v_mov_b32_e32 v12, s21
	v_mov_b32_e32 v10, v19
	;; [unrolled: 1-line block ×5, first 2 shown]
.LBB26_10:                              ;   Parent Loop BB26_8 Depth=1
                                        ; =>  This Inner Loop Header: Depth=2
	v_ashrrev_i32_e32 v11, 31, v10
	v_lshlrev_b64 v[15:16], 4, v[10:11]
	ds_read_b128 v[29:32], v13
	v_add_co_u32_e32 v15, vcc, s20, v15
	v_addc_co_u32_e32 v16, vcc, v12, v16, vcc
	global_load_dwordx4 v[25:28], v[15:16], off
	v_add_u32_e32 v14, 0x80, v14
	v_cmp_le_i32_e32 vcc, s10, v14
	v_add_u32_e32 v13, 0x800, v13
	s_or_b64 s[16:17], vcc, s[16:17]
	v_add_u32_e32 v10, s22, v10
	s_waitcnt vmcnt(0) lgkmcnt(0)
	v_mul_f64 v[15:16], v[27:28], v[31:32]
	v_mul_f64 v[31:32], v[25:26], v[31:32]
	v_fma_f64 v[15:16], v[25:26], v[29:30], -v[15:16]
	v_fma_f64 v[25:26], v[27:28], v[29:30], v[31:32]
	v_add_f64 v[2:3], v[2:3], v[15:16]
	v_add_f64 v[4:5], v[4:5], v[25:26]
	s_andn2_b64 exec, exec, s[16:17]
	s_cbranch_execnz .LBB26_10
; %bb.11:                               ;   in Loop: Header=BB26_8 Depth=1
	s_or_b64 exec, exec, s[16:17]
.LBB26_12:                              ;   in Loop: Header=BB26_8 Depth=1
	s_or_b64 exec, exec, s[8:9]
	s_and_b64 vcc, exec, s[18:19]
	s_cbranch_vccz .LBB26_19
; %bb.13:                               ;   in Loop: Header=BB26_8 Depth=1
	v_cmp_ne_u32_e32 vcc, 63, v23
	v_addc_co_u32_e32 v10, vcc, 0, v22, vcc
	v_lshlrev_b32_e32 v13, 2, v10
	ds_bpermute_b32 v10, v13, v2
	ds_bpermute_b32 v11, v13, v3
	;; [unrolled: 1-line block ×4, first 2 shown]
	v_cmp_gt_u32_e32 vcc, 62, v23
	v_cndmask_b32_e64 v14, 0, 2, vcc
	s_waitcnt lgkmcnt(2)
	v_add_f64 v[10:11], v[2:3], v[10:11]
	v_add_lshl_u32 v17, v14, v22, 2
	s_waitcnt lgkmcnt(0)
	v_add_f64 v[12:13], v[4:5], v[12:13]
	v_cmp_gt_u32_e32 vcc, 60, v23
	ds_bpermute_b32 v14, v17, v10
	ds_bpermute_b32 v15, v17, v11
	ds_bpermute_b32 v16, v17, v12
	ds_bpermute_b32 v17, v17, v13
	s_waitcnt lgkmcnt(2)
	v_add_f64 v[10:11], v[10:11], v[14:15]
	v_cndmask_b32_e64 v14, 0, 4, vcc
	s_waitcnt lgkmcnt(0)
	v_add_f64 v[12:13], v[12:13], v[16:17]
	v_add_lshl_u32 v17, v14, v22, 2
	v_cmp_gt_u32_e32 vcc, 56, v23
	ds_bpermute_b32 v14, v17, v10
	ds_bpermute_b32 v15, v17, v11
	ds_bpermute_b32 v16, v17, v12
	ds_bpermute_b32 v17, v17, v13
	s_waitcnt lgkmcnt(2)
	v_add_f64 v[10:11], v[10:11], v[14:15]
	v_cndmask_b32_e64 v14, 0, 8, vcc
	s_waitcnt lgkmcnt(0)
	v_add_f64 v[12:13], v[12:13], v[16:17]
	v_add_lshl_u32 v17, v14, v22, 2
	;; [unrolled: 11-line block ×3, first 2 shown]
	ds_bpermute_b32 v14, v17, v10
	ds_bpermute_b32 v15, v17, v11
	;; [unrolled: 1-line block ×4, first 2 shown]
	s_waitcnt lgkmcnt(2)
	v_add_f64 v[10:11], v[10:11], v[14:15]
	s_waitcnt lgkmcnt(0)
	v_add_f64 v[14:15], v[12:13], v[16:17]
	ds_bpermute_b32 v12, v24, v10
	ds_bpermute_b32 v13, v24, v11
	;; [unrolled: 1-line block ×4, first 2 shown]
	s_waitcnt lgkmcnt(2)
	v_add_f64 v[12:13], v[10:11], v[12:13]
	s_waitcnt lgkmcnt(0)
	v_add_f64 v[16:17], v[14:15], v[16:17]
	s_and_saveexec_b64 s[8:9], s[4:5]
; %bb.14:                               ;   in Loop: Header=BB26_8 Depth=1
	ds_write2_b64 v20, v[12:13], v[16:17] offset1:1
; %bb.15:                               ;   in Loop: Header=BB26_8 Depth=1
	s_or_b64 exec, exec, s[8:9]
	s_mov_b64 s[16:17], 0
	s_mov_b64 s[8:9], 0
	s_waitcnt vmcnt(0) lgkmcnt(0)
	s_barrier
                                        ; implicit-def: $vgpr10_vgpr11
                                        ; implicit-def: $vgpr14_vgpr15
	s_and_saveexec_b64 s[20:21], s[6:7]
	s_xor_b64 s[20:21], exec, s[20:21]
	s_cbranch_execz .LBB26_17
; %bb.16:                               ;   in Loop: Header=BB26_8 Depth=1
	ds_read_b128 v[25:28], v21 offset:32784
	s_mov_b64 s[8:9], exec
	s_waitcnt lgkmcnt(0)
	v_add_f64 v[10:11], v[16:17], v[27:28]
	v_add_f64 v[14:15], v[12:13], v[25:26]
.LBB26_17:                              ;   in Loop: Header=BB26_8 Depth=1
	s_or_b64 exec, exec, s[20:21]
	s_and_b64 vcc, exec, s[16:17]
	s_cbranch_vccnz .LBB26_20
.LBB26_18:                              ;   in Loop: Header=BB26_8 Depth=1
	v_mov_b32_e32 v4, v10
	v_mov_b32_e32 v2, v14
	;; [unrolled: 1-line block ×4, first 2 shown]
	s_and_saveexec_b64 s[16:17], s[8:9]
	s_cbranch_execnz .LBB26_21
	s_branch .LBB26_22
.LBB26_19:                              ;   in Loop: Header=BB26_8 Depth=1
	s_mov_b64 s[8:9], 0
                                        ; implicit-def: $vgpr10_vgpr11
                                        ; implicit-def: $vgpr14_vgpr15
	s_cbranch_execz .LBB26_18
.LBB26_20:                              ;   in Loop: Header=BB26_8 Depth=1
	s_andn2_b64 s[8:9], s[8:9], exec
	s_and_b64 s[16:17], s[6:7], exec
	s_or_b64 s[8:9], s[8:9], s[16:17]
	s_and_saveexec_b64 s[16:17], s[8:9]
.LBB26_21:                              ;   in Loop: Header=BB26_8 Depth=1
	ds_write_b128 v21, v[2:5] offset:32768
.LBB26_22:                              ;   in Loop: Header=BB26_8 Depth=1
	s_or_b64 exec, exec, s[16:17]
	s_waitcnt vmcnt(0) lgkmcnt(0)
	s_barrier
	s_and_saveexec_b64 s[8:9], s[0:1]
	s_cbranch_execz .LBB26_7
; %bb.23:                               ;   in Loop: Header=BB26_8 Depth=1
	global_load_dwordx4 v[2:5], v21, s[14:15]
	ds_read_b128 v[10:13], v21 offset:32768
	s_mov_b64 s[16:17], 0
	s_waitcnt vmcnt(0) lgkmcnt(0)
	v_mul_f64 v[14:15], v[2:3], v[10:11]
	v_mul_f64 v[16:17], v[2:3], v[12:13]
	v_fma_f64 v[2:3], v[4:5], v[12:13], -v[14:15]
	v_fma_f64 v[4:5], v[10:11], -v[4:5], -v[16:17]
	v_mov_b32_e32 v11, v7
	v_mov_b32_e32 v13, v1
	;; [unrolled: 1-line block ×5, first 2 shown]
.LBB26_24:                              ;   Parent Loop BB26_8 Depth=1
                                        ; =>  This Inner Loop Header: Depth=2
	global_load_dwordx4 v[25:28], v[10:11], off offset:-8
	ds_read_b128 v[29:32], v14
	v_add_co_u32_e32 v12, vcc, s27, v12
	v_addc_co_u32_e32 v13, vcc, 0, v13, vcc
	s_waitcnt lgkmcnt(0)
	v_mul_f64 v[15:16], v[4:5], v[31:32]
	v_mul_f64 v[31:32], v[2:3], v[31:32]
	v_cmp_le_i64_e32 vcc, s[10:11], v[12:13]
	v_add_u32_e32 v14, 0x800, v14
	s_or_b64 s[16:17], vcc, s[16:17]
	v_fma_f64 v[15:16], v[2:3], v[29:30], v[15:16]
	v_fma_f64 v[29:30], v[4:5], v[29:30], -v[31:32]
	s_waitcnt vmcnt(0)
	v_add_f64 v[25:26], v[25:26], v[15:16]
	v_add_f64 v[27:28], v[29:30], v[27:28]
	v_mov_b32_e32 v15, s13
	global_store_dwordx4 v[10:11], v[25:28], off offset:-8
	v_add_co_u32_e32 v10, vcc, s12, v10
	v_addc_co_u32_e32 v11, vcc, v11, v15, vcc
	s_andn2_b64 exec, exec, s[16:17]
	s_cbranch_execnz .LBB26_24
	s_branch .LBB26_7
.LBB26_25:
	s_endpgm
	.section	.rodata,"a",@progbits
	.p2align	6, 0x0
	.amdhsa_kernel _ZN9rocsolver6v33100L23larf_right_kernel_smallILi128E19rocblas_complex_numIdElPS3_EEvT1_S5_T2_lS5_lPKT0_lS6_lS5_l
		.amdhsa_group_segment_fixed_size 32800
		.amdhsa_private_segment_fixed_size 0
		.amdhsa_kernarg_size 96
		.amdhsa_user_sgpr_count 6
		.amdhsa_user_sgpr_private_segment_buffer 1
		.amdhsa_user_sgpr_dispatch_ptr 0
		.amdhsa_user_sgpr_queue_ptr 0
		.amdhsa_user_sgpr_kernarg_segment_ptr 1
		.amdhsa_user_sgpr_dispatch_id 0
		.amdhsa_user_sgpr_flat_scratch_init 0
		.amdhsa_user_sgpr_private_segment_size 0
		.amdhsa_uses_dynamic_stack 0
		.amdhsa_system_sgpr_private_segment_wavefront_offset 0
		.amdhsa_system_sgpr_workgroup_id_x 1
		.amdhsa_system_sgpr_workgroup_id_y 1
		.amdhsa_system_sgpr_workgroup_id_z 0
		.amdhsa_system_sgpr_workgroup_info 0
		.amdhsa_system_vgpr_workitem_id 0
		.amdhsa_next_free_vgpr 129
		.amdhsa_next_free_sgpr 98
		.amdhsa_reserve_vcc 1
		.amdhsa_reserve_flat_scratch 0
		.amdhsa_float_round_mode_32 0
		.amdhsa_float_round_mode_16_64 0
		.amdhsa_float_denorm_mode_32 3
		.amdhsa_float_denorm_mode_16_64 3
		.amdhsa_dx10_clamp 1
		.amdhsa_ieee_mode 1
		.amdhsa_fp16_overflow 0
		.amdhsa_exception_fp_ieee_invalid_op 0
		.amdhsa_exception_fp_denorm_src 0
		.amdhsa_exception_fp_ieee_div_zero 0
		.amdhsa_exception_fp_ieee_overflow 0
		.amdhsa_exception_fp_ieee_underflow 0
		.amdhsa_exception_fp_ieee_inexact 0
		.amdhsa_exception_int_div_zero 0
	.end_amdhsa_kernel
	.section	.text._ZN9rocsolver6v33100L23larf_right_kernel_smallILi128E19rocblas_complex_numIdElPS3_EEvT1_S5_T2_lS5_lPKT0_lS6_lS5_l,"axG",@progbits,_ZN9rocsolver6v33100L23larf_right_kernel_smallILi128E19rocblas_complex_numIdElPS3_EEvT1_S5_T2_lS5_lPKT0_lS6_lS5_l,comdat
.Lfunc_end26:
	.size	_ZN9rocsolver6v33100L23larf_right_kernel_smallILi128E19rocblas_complex_numIdElPS3_EEvT1_S5_T2_lS5_lPKT0_lS6_lS5_l, .Lfunc_end26-_ZN9rocsolver6v33100L23larf_right_kernel_smallILi128E19rocblas_complex_numIdElPS3_EEvT1_S5_T2_lS5_lPKT0_lS6_lS5_l
                                        ; -- End function
	.set _ZN9rocsolver6v33100L23larf_right_kernel_smallILi128E19rocblas_complex_numIdElPS3_EEvT1_S5_T2_lS5_lPKT0_lS6_lS5_l.num_vgpr, 33
	.set _ZN9rocsolver6v33100L23larf_right_kernel_smallILi128E19rocblas_complex_numIdElPS3_EEvT1_S5_T2_lS5_lPKT0_lS6_lS5_l.num_agpr, 0
	.set _ZN9rocsolver6v33100L23larf_right_kernel_smallILi128E19rocblas_complex_numIdElPS3_EEvT1_S5_T2_lS5_lPKT0_lS6_lS5_l.numbered_sgpr, 32
	.set _ZN9rocsolver6v33100L23larf_right_kernel_smallILi128E19rocblas_complex_numIdElPS3_EEvT1_S5_T2_lS5_lPKT0_lS6_lS5_l.num_named_barrier, 0
	.set _ZN9rocsolver6v33100L23larf_right_kernel_smallILi128E19rocblas_complex_numIdElPS3_EEvT1_S5_T2_lS5_lPKT0_lS6_lS5_l.private_seg_size, 0
	.set _ZN9rocsolver6v33100L23larf_right_kernel_smallILi128E19rocblas_complex_numIdElPS3_EEvT1_S5_T2_lS5_lPKT0_lS6_lS5_l.uses_vcc, 1
	.set _ZN9rocsolver6v33100L23larf_right_kernel_smallILi128E19rocblas_complex_numIdElPS3_EEvT1_S5_T2_lS5_lPKT0_lS6_lS5_l.uses_flat_scratch, 0
	.set _ZN9rocsolver6v33100L23larf_right_kernel_smallILi128E19rocblas_complex_numIdElPS3_EEvT1_S5_T2_lS5_lPKT0_lS6_lS5_l.has_dyn_sized_stack, 0
	.set _ZN9rocsolver6v33100L23larf_right_kernel_smallILi128E19rocblas_complex_numIdElPS3_EEvT1_S5_T2_lS5_lPKT0_lS6_lS5_l.has_recursion, 0
	.set _ZN9rocsolver6v33100L23larf_right_kernel_smallILi128E19rocblas_complex_numIdElPS3_EEvT1_S5_T2_lS5_lPKT0_lS6_lS5_l.has_indirect_call, 0
	.section	.AMDGPU.csdata,"",@progbits
; Kernel info:
; codeLenInByte = 1636
; TotalNumSgprs: 36
; NumVgprs: 33
; ScratchSize: 0
; MemoryBound: 0
; FloatMode: 240
; IeeeMode: 1
; LDSByteSize: 32800 bytes/workgroup (compile time only)
; SGPRBlocks: 12
; VGPRBlocks: 32
; NumSGPRsForWavesPerEU: 102
; NumVGPRsForWavesPerEU: 129
; Occupancy: 1
; WaveLimiterHint : 0
; COMPUTE_PGM_RSRC2:SCRATCH_EN: 0
; COMPUTE_PGM_RSRC2:USER_SGPR: 6
; COMPUTE_PGM_RSRC2:TRAP_HANDLER: 0
; COMPUTE_PGM_RSRC2:TGID_X_EN: 1
; COMPUTE_PGM_RSRC2:TGID_Y_EN: 1
; COMPUTE_PGM_RSRC2:TGID_Z_EN: 0
; COMPUTE_PGM_RSRC2:TIDIG_COMP_CNT: 0
	.section	.text._ZN9rocsolver6v33100L23larf_right_kernel_smallILi256E19rocblas_complex_numIdElPS3_EEvT1_S5_T2_lS5_lPKT0_lS6_lS5_l,"axG",@progbits,_ZN9rocsolver6v33100L23larf_right_kernel_smallILi256E19rocblas_complex_numIdElPS3_EEvT1_S5_T2_lS5_lPKT0_lS6_lS5_l,comdat
	.globl	_ZN9rocsolver6v33100L23larf_right_kernel_smallILi256E19rocblas_complex_numIdElPS3_EEvT1_S5_T2_lS5_lPKT0_lS6_lS5_l ; -- Begin function _ZN9rocsolver6v33100L23larf_right_kernel_smallILi256E19rocblas_complex_numIdElPS3_EEvT1_S5_T2_lS5_lPKT0_lS6_lS5_l
	.p2align	8
	.type	_ZN9rocsolver6v33100L23larf_right_kernel_smallILi256E19rocblas_complex_numIdElPS3_EEvT1_S5_T2_lS5_lPKT0_lS6_lS5_l,@function
_ZN9rocsolver6v33100L23larf_right_kernel_smallILi256E19rocblas_complex_numIdElPS3_EEvT1_S5_T2_lS5_lPKT0_lS6_lS5_l: ; @_ZN9rocsolver6v33100L23larf_right_kernel_smallILi256E19rocblas_complex_numIdElPS3_EEvT1_S5_T2_lS5_lPKT0_lS6_lS5_l
; %bb.0:
	s_load_dwordx16 s[8:23], s[4:5], 0x0
	s_mov_b32 s24, s7
	s_mov_b64 s[2:3], 0
	s_waitcnt lgkmcnt(0)
	v_cmp_gt_i64_e64 s[0:1], s[16:17], 0
	s_and_b64 vcc, exec, s[0:1]
	s_cbranch_vccnz .LBB27_2
; %bb.1:
	s_sub_u32 s0, 1, s10
	s_subb_u32 s1, 0, s11
	s_mul_i32 s1, s16, s1
	s_mul_hi_u32 s2, s16, s0
	s_add_i32 s1, s2, s1
	s_mul_i32 s2, s17, s0
	s_add_i32 s3, s1, s2
	s_mul_i32 s2, s16, s0
.LBB27_2:
	v_mov_b32_e32 v1, 0
	v_cmp_gt_i64_e64 s[0:1], s[10:11], v[0:1]
	v_lshlrev_b32_e32 v18, 4, v0
	s_and_saveexec_b64 s[26:27], s[0:1]
	s_cbranch_execz .LBB27_5
; %bb.3:
	v_mad_u64_u32 v[2:3], s[28:29], s16, v0, 0
	s_mul_i32 s7, s19, s6
	s_mul_hi_u32 s19, s18, s6
	s_add_i32 s19, s19, s7
	s_mul_i32 s18, s18, s6
	s_lshl_b64 s[18:19], s[18:19], 4
	s_lshl_b64 s[2:3], s[2:3], 4
	;; [unrolled: 1-line block ×3, first 2 shown]
	v_mad_u64_u32 v[3:4], s[28:29], s17, v0, v[3:4]
	s_add_u32 s7, s12, s14
	s_addc_u32 s12, s13, s15
	s_add_u32 s2, s7, s2
	s_addc_u32 s3, s12, s3
	v_lshlrev_b64 v[2:3], 4, v[2:3]
	s_add_u32 s2, s2, s18
	s_addc_u32 s3, s3, s19
	v_mov_b32_e32 v4, s3
	v_add_co_u32_e32 v2, vcc, s2, v2
	v_addc_co_u32_e32 v3, vcc, v4, v3, vcc
	s_lshl_b64 s[12:13], s[16:17], 12
	v_mov_b32_e32 v5, v1
	v_lshlrev_b32_e32 v6, 4, v0
	s_mov_b64 s[14:15], 0
	v_mov_b32_e32 v7, s13
	v_mov_b32_e32 v4, v0
.LBB27_4:                               ; =>This Inner Loop Header: Depth=1
	global_load_dwordx4 v[8:11], v[2:3], off
	v_add_co_u32_e32 v4, vcc, 0x100, v4
	v_addc_co_u32_e32 v5, vcc, 0, v5, vcc
	v_cmp_le_i64_e32 vcc, s[10:11], v[4:5]
	v_add_co_u32_e64 v2, s[2:3], s12, v2
	v_addc_co_u32_e64 v3, s[2:3], v3, v7, s[2:3]
	s_or_b64 s[14:15], vcc, s[14:15]
	s_waitcnt vmcnt(0)
	ds_write2_b64 v6, v[8:9], v[10:11] offset1:1
	v_add_u32_e32 v6, 0x1000, v6
	s_andn2_b64 exec, exec, s[14:15]
	s_cbranch_execnz .LBB27_4
.LBB27_5:
	s_or_b64 exec, exec, s[26:27]
	s_mov_b32 s25, 0
	v_mov_b32_e32 v2, s24
	v_mov_b32_e32 v3, s25
	v_cmp_le_i64_e32 vcc, s[8:9], v[2:3]
	s_waitcnt lgkmcnt(0)
	s_barrier
	s_cbranch_vccnz .LBB27_25
; %bb.6:
	s_load_dwordx8 s[12:19], s[4:5], 0x40
	s_mul_i32 s4, s23, s6
	v_and_b32_e32 v4, 63, v0
	v_lshrrev_b32_e32 v5, 2, v0
	v_mov_b32_e32 v8, s8
	s_waitcnt lgkmcnt(0)
	s_mul_i32 s3, s19, s6
	s_mul_hi_u32 s5, s18, s6
	s_mul_i32 s2, s18, s6
	s_add_i32 s3, s5, s3
	s_lshl_b64 s[28:29], s[2:3], 4
	s_add_u32 s2, s12, s28
	s_addc_u32 s3, s13, s29
	s_lshl_b64 s[30:31], s[14:15], 4
	s_add_u32 s23, s2, s30
	s_mul_hi_u32 s2, s22, s6
	s_addc_u32 s26, s3, s31
	s_add_i32 s3, s2, s4
	s_mul_i32 s2, s22, s6
	s_lshl_b64 s[2:3], s[2:3], 4
	s_add_u32 s14, s20, s2
	v_mad_u64_u32 v[2:3], s[4:5], s16, v0, 0
	s_addc_u32 s15, s21, s3
	s_cmp_gt_i32 s10, 1
	s_cselect_b64 s[18:19], -1, 0
	s_lshl_b32 s22, s16, 8
	s_lshl_b64 s[20:21], s[24:25], 4
	v_cmp_eq_u32_e64 s[4:5], 0, v4
	v_mad_u64_u32 v[3:4], s[6:7], s17, v0, v[3:4]
	s_add_u32 s12, s12, s20
	s_addc_u32 s13, s13, s21
	s_add_u32 s12, s12, s30
	s_addc_u32 s13, s13, s31
	v_lshlrev_b64 v[2:3], 4, v[2:3]
	s_add_u32 s12, s12, s28
	s_addc_u32 s13, s13, s29
	v_mov_b32_e32 v4, s13
	v_add_co_u32_e32 v2, vcc, s12, v2
	v_mul_lo_u32 v19, v0, s16
	v_addc_co_u32_e32 v3, vcc, v4, v3, vcc
	v_add_co_u32_e32 v6, vcc, 8, v2
	v_mbcnt_lo_u32_b32 v2, -1, 0
	v_mbcnt_hi_u32_b32 v22, -1, v2
	v_mov_b32_e32 v2, 0x80
	v_cmp_gt_i32_e64 s[2:3], s10, v0
	v_cmp_eq_u32_e64 s[6:7], 0, v0
	v_addc_co_u32_e32 v7, vcc, 0, v3, vcc
	s_lshl_b64 s[12:13], s[16:17], 12
	s_movk_i32 s27, 0x100
	v_or_b32_e32 v20, 0x8000, v5
	v_mov_b32_e32 v21, 0
	v_mov_b32_e32 v9, s9
	v_and_b32_e32 v23, 63, v22
	v_lshl_or_b32 v24, v22, 2, v2
	s_branch .LBB27_8
.LBB27_7:                               ;   in Loop: Header=BB27_8 Depth=1
	s_or_b64 exec, exec, s[8:9]
	s_add_u32 s24, s24, 64
	s_addc_u32 s25, s25, 0
	v_add_co_u32_e32 v6, vcc, 0x400, v6
	v_cmp_ge_i64_e64 s[8:9], s[24:25], v[8:9]
	v_addc_co_u32_e32 v7, vcc, 0, v7, vcc
	s_and_b64 vcc, exec, s[8:9]
	s_cbranch_vccnz .LBB27_25
.LBB27_8:                               ; =>This Loop Header: Depth=1
                                        ;     Child Loop BB27_10 Depth 2
                                        ;     Child Loop BB27_24 Depth 2
	v_mov_b32_e32 v4, 0
	v_mov_b32_e32 v2, 0
	;; [unrolled: 1-line block ×4, first 2 shown]
	s_and_saveexec_b64 s[8:9], s[2:3]
	s_cbranch_execz .LBB27_12
; %bb.9:                                ;   in Loop: Header=BB27_8 Depth=1
	s_lshl_b64 s[16:17], s[24:25], 4
	s_add_u32 s20, s23, s16
	s_addc_u32 s21, s26, s17
	v_mov_b32_e32 v4, 0
	v_mov_b32_e32 v2, 0
	;; [unrolled: 1-line block ×3, first 2 shown]
	s_mov_b64 s[16:17], 0
	v_mov_b32_e32 v12, s21
	v_mov_b32_e32 v10, v19
	;; [unrolled: 1-line block ×5, first 2 shown]
.LBB27_10:                              ;   Parent Loop BB27_8 Depth=1
                                        ; =>  This Inner Loop Header: Depth=2
	v_ashrrev_i32_e32 v11, 31, v10
	v_lshlrev_b64 v[15:16], 4, v[10:11]
	ds_read_b128 v[29:32], v13
	v_add_co_u32_e32 v15, vcc, s20, v15
	v_addc_co_u32_e32 v16, vcc, v12, v16, vcc
	global_load_dwordx4 v[25:28], v[15:16], off
	v_add_u32_e32 v14, 0x100, v14
	v_cmp_le_i32_e32 vcc, s10, v14
	v_add_u32_e32 v13, 0x1000, v13
	s_or_b64 s[16:17], vcc, s[16:17]
	v_add_u32_e32 v10, s22, v10
	s_waitcnt vmcnt(0) lgkmcnt(0)
	v_mul_f64 v[15:16], v[27:28], v[31:32]
	v_mul_f64 v[31:32], v[25:26], v[31:32]
	v_fma_f64 v[15:16], v[25:26], v[29:30], -v[15:16]
	v_fma_f64 v[25:26], v[27:28], v[29:30], v[31:32]
	v_add_f64 v[2:3], v[2:3], v[15:16]
	v_add_f64 v[4:5], v[4:5], v[25:26]
	s_andn2_b64 exec, exec, s[16:17]
	s_cbranch_execnz .LBB27_10
; %bb.11:                               ;   in Loop: Header=BB27_8 Depth=1
	s_or_b64 exec, exec, s[16:17]
.LBB27_12:                              ;   in Loop: Header=BB27_8 Depth=1
	s_or_b64 exec, exec, s[8:9]
	s_and_b64 vcc, exec, s[18:19]
	s_cbranch_vccz .LBB27_19
; %bb.13:                               ;   in Loop: Header=BB27_8 Depth=1
	v_cmp_ne_u32_e32 vcc, 63, v23
	v_addc_co_u32_e32 v10, vcc, 0, v22, vcc
	v_lshlrev_b32_e32 v13, 2, v10
	ds_bpermute_b32 v10, v13, v2
	ds_bpermute_b32 v11, v13, v3
	;; [unrolled: 1-line block ×4, first 2 shown]
	v_cmp_gt_u32_e32 vcc, 62, v23
	v_cndmask_b32_e64 v14, 0, 2, vcc
	s_waitcnt lgkmcnt(2)
	v_add_f64 v[10:11], v[2:3], v[10:11]
	v_add_lshl_u32 v17, v14, v22, 2
	s_waitcnt lgkmcnt(0)
	v_add_f64 v[12:13], v[4:5], v[12:13]
	v_cmp_gt_u32_e32 vcc, 60, v23
	ds_bpermute_b32 v14, v17, v10
	ds_bpermute_b32 v15, v17, v11
	ds_bpermute_b32 v16, v17, v12
	ds_bpermute_b32 v17, v17, v13
	s_waitcnt lgkmcnt(2)
	v_add_f64 v[10:11], v[10:11], v[14:15]
	v_cndmask_b32_e64 v14, 0, 4, vcc
	s_waitcnt lgkmcnt(0)
	v_add_f64 v[12:13], v[12:13], v[16:17]
	v_add_lshl_u32 v17, v14, v22, 2
	v_cmp_gt_u32_e32 vcc, 56, v23
	ds_bpermute_b32 v14, v17, v10
	ds_bpermute_b32 v15, v17, v11
	ds_bpermute_b32 v16, v17, v12
	ds_bpermute_b32 v17, v17, v13
	s_waitcnt lgkmcnt(2)
	v_add_f64 v[10:11], v[10:11], v[14:15]
	v_cndmask_b32_e64 v14, 0, 8, vcc
	s_waitcnt lgkmcnt(0)
	v_add_f64 v[12:13], v[12:13], v[16:17]
	v_add_lshl_u32 v17, v14, v22, 2
	;; [unrolled: 11-line block ×3, first 2 shown]
	ds_bpermute_b32 v14, v17, v10
	ds_bpermute_b32 v15, v17, v11
	;; [unrolled: 1-line block ×4, first 2 shown]
	s_waitcnt lgkmcnt(2)
	v_add_f64 v[10:11], v[10:11], v[14:15]
	s_waitcnt lgkmcnt(0)
	v_add_f64 v[12:13], v[12:13], v[16:17]
	ds_bpermute_b32 v14, v24, v10
	ds_bpermute_b32 v15, v24, v11
	;; [unrolled: 1-line block ×4, first 2 shown]
	s_waitcnt lgkmcnt(2)
	v_add_f64 v[10:11], v[10:11], v[14:15]
	s_waitcnt lgkmcnt(0)
	v_add_f64 v[12:13], v[12:13], v[16:17]
	s_and_saveexec_b64 s[8:9], s[4:5]
; %bb.14:                               ;   in Loop: Header=BB27_8 Depth=1
	ds_write2_b64 v20, v[10:11], v[12:13] offset1:1
; %bb.15:                               ;   in Loop: Header=BB27_8 Depth=1
	s_or_b64 exec, exec, s[8:9]
	s_mov_b64 s[16:17], 0
	s_mov_b64 s[8:9], 0
	s_waitcnt vmcnt(0) lgkmcnt(0)
	s_barrier
                                        ; implicit-def: $vgpr14_vgpr15
                                        ; implicit-def: $vgpr16_vgpr17
	s_and_saveexec_b64 s[20:21], s[6:7]
	s_xor_b64 s[20:21], exec, s[20:21]
	s_cbranch_execz .LBB27_17
; %bb.16:                               ;   in Loop: Header=BB27_8 Depth=1
	ds_read_b128 v[14:17], v21 offset:32784
	ds_read_b128 v[25:28], v21 offset:32800
	s_mov_b64 s[8:9], exec
	s_waitcnt lgkmcnt(1)
	v_add_f64 v[10:11], v[10:11], v[14:15]
	v_add_f64 v[12:13], v[12:13], v[16:17]
	s_waitcnt lgkmcnt(0)
	v_add_f64 v[14:15], v[10:11], v[25:26]
	v_add_f64 v[25:26], v[12:13], v[27:28]
	ds_read_b128 v[10:13], v21 offset:32816
	s_waitcnt lgkmcnt(0)
	v_add_f64 v[16:17], v[14:15], v[10:11]
	v_add_f64 v[14:15], v[25:26], v[12:13]
.LBB27_17:                              ;   in Loop: Header=BB27_8 Depth=1
	s_or_b64 exec, exec, s[20:21]
	s_and_b64 vcc, exec, s[16:17]
	s_cbranch_vccnz .LBB27_20
.LBB27_18:                              ;   in Loop: Header=BB27_8 Depth=1
	v_mov_b32_e32 v4, v14
	v_mov_b32_e32 v2, v16
	;; [unrolled: 1-line block ×4, first 2 shown]
	s_and_saveexec_b64 s[16:17], s[8:9]
	s_cbranch_execnz .LBB27_21
	s_branch .LBB27_22
.LBB27_19:                              ;   in Loop: Header=BB27_8 Depth=1
	s_mov_b64 s[8:9], 0
                                        ; implicit-def: $vgpr14_vgpr15
                                        ; implicit-def: $vgpr16_vgpr17
	s_cbranch_execz .LBB27_18
.LBB27_20:                              ;   in Loop: Header=BB27_8 Depth=1
	s_andn2_b64 s[8:9], s[8:9], exec
	s_and_b64 s[16:17], s[6:7], exec
	s_or_b64 s[8:9], s[8:9], s[16:17]
	s_and_saveexec_b64 s[16:17], s[8:9]
.LBB27_21:                              ;   in Loop: Header=BB27_8 Depth=1
	ds_write_b128 v21, v[2:5] offset:32768
.LBB27_22:                              ;   in Loop: Header=BB27_8 Depth=1
	s_or_b64 exec, exec, s[16:17]
	s_waitcnt vmcnt(0) lgkmcnt(0)
	s_barrier
	s_and_saveexec_b64 s[8:9], s[0:1]
	s_cbranch_execz .LBB27_7
; %bb.23:                               ;   in Loop: Header=BB27_8 Depth=1
	global_load_dwordx4 v[2:5], v21, s[14:15]
	ds_read_b128 v[10:13], v21 offset:32768
	s_mov_b64 s[16:17], 0
	s_waitcnt vmcnt(0) lgkmcnt(0)
	v_mul_f64 v[14:15], v[2:3], v[10:11]
	v_mul_f64 v[16:17], v[2:3], v[12:13]
	v_fma_f64 v[2:3], v[4:5], v[12:13], -v[14:15]
	v_fma_f64 v[4:5], v[10:11], -v[4:5], -v[16:17]
	v_mov_b32_e32 v11, v7
	v_mov_b32_e32 v13, v1
	;; [unrolled: 1-line block ×5, first 2 shown]
.LBB27_24:                              ;   Parent Loop BB27_8 Depth=1
                                        ; =>  This Inner Loop Header: Depth=2
	global_load_dwordx4 v[25:28], v[10:11], off offset:-8
	ds_read_b128 v[29:32], v14
	v_add_co_u32_e32 v12, vcc, s27, v12
	v_addc_co_u32_e32 v13, vcc, 0, v13, vcc
	s_waitcnt lgkmcnt(0)
	v_mul_f64 v[15:16], v[4:5], v[31:32]
	v_mul_f64 v[31:32], v[2:3], v[31:32]
	v_cmp_le_i64_e32 vcc, s[10:11], v[12:13]
	v_add_u32_e32 v14, 0x1000, v14
	s_or_b64 s[16:17], vcc, s[16:17]
	v_fma_f64 v[15:16], v[2:3], v[29:30], v[15:16]
	v_fma_f64 v[29:30], v[4:5], v[29:30], -v[31:32]
	s_waitcnt vmcnt(0)
	v_add_f64 v[25:26], v[25:26], v[15:16]
	v_add_f64 v[27:28], v[29:30], v[27:28]
	v_mov_b32_e32 v15, s13
	global_store_dwordx4 v[10:11], v[25:28], off offset:-8
	v_add_co_u32_e32 v10, vcc, s12, v10
	v_addc_co_u32_e32 v11, vcc, v11, v15, vcc
	s_andn2_b64 exec, exec, s[16:17]
	s_cbranch_execnz .LBB27_24
	s_branch .LBB27_7
.LBB27_25:
	s_endpgm
	.section	.rodata,"a",@progbits
	.p2align	6, 0x0
	.amdhsa_kernel _ZN9rocsolver6v33100L23larf_right_kernel_smallILi256E19rocblas_complex_numIdElPS3_EEvT1_S5_T2_lS5_lPKT0_lS6_lS5_l
		.amdhsa_group_segment_fixed_size 32832
		.amdhsa_private_segment_fixed_size 0
		.amdhsa_kernarg_size 96
		.amdhsa_user_sgpr_count 6
		.amdhsa_user_sgpr_private_segment_buffer 1
		.amdhsa_user_sgpr_dispatch_ptr 0
		.amdhsa_user_sgpr_queue_ptr 0
		.amdhsa_user_sgpr_kernarg_segment_ptr 1
		.amdhsa_user_sgpr_dispatch_id 0
		.amdhsa_user_sgpr_flat_scratch_init 0
		.amdhsa_user_sgpr_private_segment_size 0
		.amdhsa_uses_dynamic_stack 0
		.amdhsa_system_sgpr_private_segment_wavefront_offset 0
		.amdhsa_system_sgpr_workgroup_id_x 1
		.amdhsa_system_sgpr_workgroup_id_y 1
		.amdhsa_system_sgpr_workgroup_id_z 0
		.amdhsa_system_sgpr_workgroup_info 0
		.amdhsa_system_vgpr_workitem_id 0
		.amdhsa_next_free_vgpr 129
		.amdhsa_next_free_sgpr 98
		.amdhsa_reserve_vcc 1
		.amdhsa_reserve_flat_scratch 0
		.amdhsa_float_round_mode_32 0
		.amdhsa_float_round_mode_16_64 0
		.amdhsa_float_denorm_mode_32 3
		.amdhsa_float_denorm_mode_16_64 3
		.amdhsa_dx10_clamp 1
		.amdhsa_ieee_mode 1
		.amdhsa_fp16_overflow 0
		.amdhsa_exception_fp_ieee_invalid_op 0
		.amdhsa_exception_fp_denorm_src 0
		.amdhsa_exception_fp_ieee_div_zero 0
		.amdhsa_exception_fp_ieee_overflow 0
		.amdhsa_exception_fp_ieee_underflow 0
		.amdhsa_exception_fp_ieee_inexact 0
		.amdhsa_exception_int_div_zero 0
	.end_amdhsa_kernel
	.section	.text._ZN9rocsolver6v33100L23larf_right_kernel_smallILi256E19rocblas_complex_numIdElPS3_EEvT1_S5_T2_lS5_lPKT0_lS6_lS5_l,"axG",@progbits,_ZN9rocsolver6v33100L23larf_right_kernel_smallILi256E19rocblas_complex_numIdElPS3_EEvT1_S5_T2_lS5_lPKT0_lS6_lS5_l,comdat
.Lfunc_end27:
	.size	_ZN9rocsolver6v33100L23larf_right_kernel_smallILi256E19rocblas_complex_numIdElPS3_EEvT1_S5_T2_lS5_lPKT0_lS6_lS5_l, .Lfunc_end27-_ZN9rocsolver6v33100L23larf_right_kernel_smallILi256E19rocblas_complex_numIdElPS3_EEvT1_S5_T2_lS5_lPKT0_lS6_lS5_l
                                        ; -- End function
	.set _ZN9rocsolver6v33100L23larf_right_kernel_smallILi256E19rocblas_complex_numIdElPS3_EEvT1_S5_T2_lS5_lPKT0_lS6_lS5_l.num_vgpr, 33
	.set _ZN9rocsolver6v33100L23larf_right_kernel_smallILi256E19rocblas_complex_numIdElPS3_EEvT1_S5_T2_lS5_lPKT0_lS6_lS5_l.num_agpr, 0
	.set _ZN9rocsolver6v33100L23larf_right_kernel_smallILi256E19rocblas_complex_numIdElPS3_EEvT1_S5_T2_lS5_lPKT0_lS6_lS5_l.numbered_sgpr, 32
	.set _ZN9rocsolver6v33100L23larf_right_kernel_smallILi256E19rocblas_complex_numIdElPS3_EEvT1_S5_T2_lS5_lPKT0_lS6_lS5_l.num_named_barrier, 0
	.set _ZN9rocsolver6v33100L23larf_right_kernel_smallILi256E19rocblas_complex_numIdElPS3_EEvT1_S5_T2_lS5_lPKT0_lS6_lS5_l.private_seg_size, 0
	.set _ZN9rocsolver6v33100L23larf_right_kernel_smallILi256E19rocblas_complex_numIdElPS3_EEvT1_S5_T2_lS5_lPKT0_lS6_lS5_l.uses_vcc, 1
	.set _ZN9rocsolver6v33100L23larf_right_kernel_smallILi256E19rocblas_complex_numIdElPS3_EEvT1_S5_T2_lS5_lPKT0_lS6_lS5_l.uses_flat_scratch, 0
	.set _ZN9rocsolver6v33100L23larf_right_kernel_smallILi256E19rocblas_complex_numIdElPS3_EEvT1_S5_T2_lS5_lPKT0_lS6_lS5_l.has_dyn_sized_stack, 0
	.set _ZN9rocsolver6v33100L23larf_right_kernel_smallILi256E19rocblas_complex_numIdElPS3_EEvT1_S5_T2_lS5_lPKT0_lS6_lS5_l.has_recursion, 0
	.set _ZN9rocsolver6v33100L23larf_right_kernel_smallILi256E19rocblas_complex_numIdElPS3_EEvT1_S5_T2_lS5_lPKT0_lS6_lS5_l.has_indirect_call, 0
	.section	.AMDGPU.csdata,"",@progbits
; Kernel info:
; codeLenInByte = 1692
; TotalNumSgprs: 36
; NumVgprs: 33
; ScratchSize: 0
; MemoryBound: 0
; FloatMode: 240
; IeeeMode: 1
; LDSByteSize: 32832 bytes/workgroup (compile time only)
; SGPRBlocks: 12
; VGPRBlocks: 32
; NumSGPRsForWavesPerEU: 102
; NumVGPRsForWavesPerEU: 129
; Occupancy: 1
; WaveLimiterHint : 0
; COMPUTE_PGM_RSRC2:SCRATCH_EN: 0
; COMPUTE_PGM_RSRC2:USER_SGPR: 6
; COMPUTE_PGM_RSRC2:TRAP_HANDLER: 0
; COMPUTE_PGM_RSRC2:TGID_X_EN: 1
; COMPUTE_PGM_RSRC2:TGID_Y_EN: 1
; COMPUTE_PGM_RSRC2:TGID_Z_EN: 0
; COMPUTE_PGM_RSRC2:TIDIG_COMP_CNT: 0
	.section	.text._ZN9rocsolver6v33100L23larf_right_kernel_smallILi512E19rocblas_complex_numIdElPS3_EEvT1_S5_T2_lS5_lPKT0_lS6_lS5_l,"axG",@progbits,_ZN9rocsolver6v33100L23larf_right_kernel_smallILi512E19rocblas_complex_numIdElPS3_EEvT1_S5_T2_lS5_lPKT0_lS6_lS5_l,comdat
	.globl	_ZN9rocsolver6v33100L23larf_right_kernel_smallILi512E19rocblas_complex_numIdElPS3_EEvT1_S5_T2_lS5_lPKT0_lS6_lS5_l ; -- Begin function _ZN9rocsolver6v33100L23larf_right_kernel_smallILi512E19rocblas_complex_numIdElPS3_EEvT1_S5_T2_lS5_lPKT0_lS6_lS5_l
	.p2align	8
	.type	_ZN9rocsolver6v33100L23larf_right_kernel_smallILi512E19rocblas_complex_numIdElPS3_EEvT1_S5_T2_lS5_lPKT0_lS6_lS5_l,@function
_ZN9rocsolver6v33100L23larf_right_kernel_smallILi512E19rocblas_complex_numIdElPS3_EEvT1_S5_T2_lS5_lPKT0_lS6_lS5_l: ; @_ZN9rocsolver6v33100L23larf_right_kernel_smallILi512E19rocblas_complex_numIdElPS3_EEvT1_S5_T2_lS5_lPKT0_lS6_lS5_l
; %bb.0:
	s_load_dwordx16 s[12:27], s[4:5], 0x0
	s_mov_b32 s10, s7
	s_mov_b64 s[2:3], 0
	s_waitcnt lgkmcnt(0)
	v_cmp_gt_i64_e64 s[0:1], s[20:21], 0
	s_and_b64 vcc, exec, s[0:1]
	s_cbranch_vccnz .LBB28_2
; %bb.1:
	s_sub_u32 s0, 1, s14
	s_subb_u32 s1, 0, s15
	s_mul_i32 s1, s20, s1
	s_mul_hi_u32 s2, s20, s0
	s_add_i32 s1, s2, s1
	s_mul_i32 s2, s21, s0
	s_add_i32 s3, s1, s2
	s_mul_i32 s2, s20, s0
.LBB28_2:
	v_mov_b32_e32 v1, 0
	v_cmp_gt_i64_e64 s[0:1], s[14:15], v[0:1]
	v_lshlrev_b32_e32 v16, 4, v0
	s_and_saveexec_b64 s[8:9], s[0:1]
	s_cbranch_execz .LBB28_5
; %bb.3:
	v_mad_u64_u32 v[2:3], s[28:29], s20, v0, 0
	s_mul_i32 s7, s23, s6
	s_mul_hi_u32 s11, s22, s6
	s_add_i32 s23, s11, s7
	s_mul_i32 s22, s22, s6
	s_lshl_b64 s[22:23], s[22:23], 4
	s_lshl_b64 s[2:3], s[2:3], 4
	;; [unrolled: 1-line block ×3, first 2 shown]
	v_mad_u64_u32 v[3:4], s[28:29], s21, v0, v[3:4]
	s_add_u32 s7, s16, s18
	s_addc_u32 s11, s17, s19
	s_add_u32 s2, s7, s2
	s_addc_u32 s3, s11, s3
	v_lshlrev_b64 v[2:3], 4, v[2:3]
	s_add_u32 s2, s2, s22
	s_addc_u32 s3, s3, s23
	v_mov_b32_e32 v4, s3
	v_add_co_u32_e32 v2, vcc, s2, v2
	v_addc_co_u32_e32 v3, vcc, v4, v3, vcc
	s_lshl_b64 s[16:17], s[20:21], 13
	v_mov_b32_e32 v5, v1
	v_lshlrev_b32_e32 v6, 4, v0
	s_mov_b64 s[18:19], 0
	v_mov_b32_e32 v7, s17
	v_mov_b32_e32 v4, v0
.LBB28_4:                               ; =>This Inner Loop Header: Depth=1
	global_load_dwordx4 v[8:11], v[2:3], off
	v_add_co_u32_e32 v4, vcc, 0x200, v4
	v_addc_co_u32_e32 v5, vcc, 0, v5, vcc
	v_cmp_le_i64_e32 vcc, s[14:15], v[4:5]
	v_add_co_u32_e64 v2, s[2:3], s16, v2
	v_addc_co_u32_e64 v3, s[2:3], v3, v7, s[2:3]
	s_or_b64 s[18:19], vcc, s[18:19]
	s_waitcnt vmcnt(0)
	ds_write2_b64 v6, v[8:9], v[10:11] offset1:1
	v_add_u32_e32 v6, 0x2000, v6
	s_andn2_b64 exec, exec, s[18:19]
	s_cbranch_execnz .LBB28_4
.LBB28_5:
	s_or_b64 exec, exec, s[8:9]
	s_mov_b32 s11, 0
	v_mov_b32_e32 v2, s10
	v_mov_b32_e32 v3, s11
	v_cmp_le_i64_e32 vcc, s[12:13], v[2:3]
	s_waitcnt lgkmcnt(0)
	s_barrier
	s_cbranch_vccnz .LBB28_25
; %bb.6:
	s_load_dwordx8 s[16:23], s[4:5], 0x40
	s_mul_i32 s4, s27, s6
	v_and_b32_e32 v4, 63, v0
	v_lshrrev_b32_e32 v5, 2, v0
	s_movk_i32 s29, 0x200
	s_waitcnt lgkmcnt(0)
	s_mul_i32 s3, s23, s6
	s_mul_hi_u32 s5, s22, s6
	s_mul_i32 s2, s22, s6
	s_add_i32 s3, s5, s3
	s_lshl_b64 s[8:9], s[2:3], 4
	s_add_u32 s2, s16, s8
	s_addc_u32 s3, s17, s9
	s_lshl_b64 s[30:31], s[18:19], 4
	s_add_u32 s27, s2, s30
	s_mul_hi_u32 s2, s26, s6
	s_addc_u32 s28, s3, s31
	s_add_i32 s3, s2, s4
	s_mul_i32 s2, s26, s6
	s_lshl_b64 s[2:3], s[2:3], 4
	s_add_u32 s18, s24, s2
	v_mad_u64_u32 v[2:3], s[4:5], s20, v0, 0
	s_addc_u32 s19, s25, s3
	s_cmp_gt_i32 s14, 1
	s_cselect_b64 s[22:23], -1, 0
	s_lshl_b32 s26, s20, 9
	s_lshl_b64 s[24:25], s[10:11], 4
	v_cmp_eq_u32_e64 s[4:5], 0, v4
	v_mad_u64_u32 v[3:4], s[6:7], s21, v0, v[3:4]
	s_add_u32 s16, s16, s24
	s_addc_u32 s17, s17, s25
	s_add_u32 s16, s16, s30
	s_addc_u32 s17, s17, s31
	v_lshlrev_b64 v[2:3], 4, v[2:3]
	s_add_u32 s8, s16, s8
	s_addc_u32 s9, s17, s9
	v_mov_b32_e32 v4, s9
	v_add_co_u32_e32 v2, vcc, s8, v2
	v_mul_lo_u32 v17, v0, s20
	v_addc_co_u32_e32 v3, vcc, v4, v3, vcc
	v_add_co_u32_e32 v6, vcc, 8, v2
	v_mbcnt_lo_u32_b32 v2, -1, 0
	v_mbcnt_hi_u32_b32 v20, -1, v2
	v_mov_b32_e32 v2, 0x80
	v_cmp_gt_i32_e64 s[2:3], s14, v0
	v_cmp_eq_u32_e64 s[6:7], 0, v0
	v_addc_co_u32_e32 v7, vcc, 0, v3, vcc
	s_lshl_b64 s[16:17], s[20:21], 13
	v_or_b32_e32 v18, 0x8000, v5
	v_mov_b32_e32 v19, 0
	v_and_b32_e32 v21, 63, v20
	v_lshl_or_b32 v22, v20, 2, v2
	s_branch .LBB28_8
.LBB28_7:                               ;   in Loop: Header=BB28_8 Depth=1
	s_or_b64 exec, exec, s[8:9]
	s_add_u32 s10, s10, 64
	v_mov_b32_e32 v2, s12
	s_addc_u32 s11, s11, 0
	v_mov_b32_e32 v3, s13
	v_add_co_u32_e32 v6, vcc, 0x400, v6
	v_cmp_ge_i64_e64 s[8:9], s[10:11], v[2:3]
	v_addc_co_u32_e32 v7, vcc, 0, v7, vcc
	s_and_b64 vcc, exec, s[8:9]
	s_cbranch_vccnz .LBB28_25
.LBB28_8:                               ; =>This Loop Header: Depth=1
                                        ;     Child Loop BB28_10 Depth 2
                                        ;     Child Loop BB28_24 Depth 2
	v_mov_b32_e32 v4, 0
	v_mov_b32_e32 v2, 0
	;; [unrolled: 1-line block ×4, first 2 shown]
	s_and_saveexec_b64 s[8:9], s[2:3]
	s_cbranch_execz .LBB28_12
; %bb.9:                                ;   in Loop: Header=BB28_8 Depth=1
	s_lshl_b64 s[20:21], s[10:11], 4
	s_add_u32 s24, s27, s20
	s_addc_u32 s25, s28, s21
	v_mov_b32_e32 v4, 0
	v_mov_b32_e32 v2, 0
	;; [unrolled: 1-line block ×3, first 2 shown]
	s_mov_b64 s[20:21], 0
	v_mov_b32_e32 v10, s25
	v_mov_b32_e32 v8, v17
	;; [unrolled: 1-line block ×5, first 2 shown]
.LBB28_10:                              ;   Parent Loop BB28_8 Depth=1
                                        ; =>  This Inner Loop Header: Depth=2
	v_ashrrev_i32_e32 v9, 31, v8
	v_lshlrev_b64 v[13:14], 4, v[8:9]
	ds_read_b128 v[27:30], v11
	v_add_co_u32_e32 v13, vcc, s24, v13
	v_addc_co_u32_e32 v14, vcc, v10, v14, vcc
	global_load_dwordx4 v[23:26], v[13:14], off
	v_add_u32_e32 v12, 0x200, v12
	v_cmp_le_i32_e32 vcc, s14, v12
	v_add_u32_e32 v11, 0x2000, v11
	s_or_b64 s[20:21], vcc, s[20:21]
	v_add_u32_e32 v8, s26, v8
	s_waitcnt vmcnt(0) lgkmcnt(0)
	v_mul_f64 v[13:14], v[25:26], v[29:30]
	v_mul_f64 v[29:30], v[23:24], v[29:30]
	v_fma_f64 v[13:14], v[23:24], v[27:28], -v[13:14]
	v_fma_f64 v[23:24], v[25:26], v[27:28], v[29:30]
	v_add_f64 v[2:3], v[2:3], v[13:14]
	v_add_f64 v[4:5], v[4:5], v[23:24]
	s_andn2_b64 exec, exec, s[20:21]
	s_cbranch_execnz .LBB28_10
; %bb.11:                               ;   in Loop: Header=BB28_8 Depth=1
	s_or_b64 exec, exec, s[20:21]
.LBB28_12:                              ;   in Loop: Header=BB28_8 Depth=1
	s_or_b64 exec, exec, s[8:9]
	s_and_b64 vcc, exec, s[22:23]
	s_cbranch_vccz .LBB28_19
; %bb.13:                               ;   in Loop: Header=BB28_8 Depth=1
	v_cmp_ne_u32_e32 vcc, 63, v21
	v_addc_co_u32_e32 v8, vcc, 0, v20, vcc
	v_lshlrev_b32_e32 v11, 2, v8
	ds_bpermute_b32 v8, v11, v2
	ds_bpermute_b32 v9, v11, v3
	;; [unrolled: 1-line block ×4, first 2 shown]
	v_cmp_gt_u32_e32 vcc, 62, v21
	v_cndmask_b32_e64 v12, 0, 2, vcc
	s_waitcnt lgkmcnt(2)
	v_add_f64 v[8:9], v[2:3], v[8:9]
	v_add_lshl_u32 v15, v12, v20, 2
	s_waitcnt lgkmcnt(0)
	v_add_f64 v[10:11], v[4:5], v[10:11]
	v_cmp_gt_u32_e32 vcc, 60, v21
	ds_bpermute_b32 v12, v15, v8
	ds_bpermute_b32 v13, v15, v9
	ds_bpermute_b32 v14, v15, v10
	ds_bpermute_b32 v15, v15, v11
	s_waitcnt lgkmcnt(2)
	v_add_f64 v[8:9], v[8:9], v[12:13]
	v_cndmask_b32_e64 v12, 0, 4, vcc
	s_waitcnt lgkmcnt(0)
	v_add_f64 v[10:11], v[10:11], v[14:15]
	v_add_lshl_u32 v15, v12, v20, 2
	v_cmp_gt_u32_e32 vcc, 56, v21
	ds_bpermute_b32 v12, v15, v8
	ds_bpermute_b32 v13, v15, v9
	ds_bpermute_b32 v14, v15, v10
	ds_bpermute_b32 v15, v15, v11
	s_waitcnt lgkmcnt(2)
	v_add_f64 v[8:9], v[8:9], v[12:13]
	v_cndmask_b32_e64 v12, 0, 8, vcc
	s_waitcnt lgkmcnt(0)
	v_add_f64 v[10:11], v[10:11], v[14:15]
	v_add_lshl_u32 v15, v12, v20, 2
	;; [unrolled: 11-line block ×3, first 2 shown]
	ds_bpermute_b32 v12, v15, v8
	ds_bpermute_b32 v13, v15, v9
	;; [unrolled: 1-line block ×4, first 2 shown]
	s_waitcnt lgkmcnt(2)
	v_add_f64 v[8:9], v[8:9], v[12:13]
	s_waitcnt lgkmcnt(0)
	v_add_f64 v[10:11], v[10:11], v[14:15]
	ds_bpermute_b32 v12, v22, v8
	ds_bpermute_b32 v13, v22, v9
	;; [unrolled: 1-line block ×4, first 2 shown]
	s_waitcnt lgkmcnt(2)
	v_add_f64 v[8:9], v[8:9], v[12:13]
	s_waitcnt lgkmcnt(0)
	v_add_f64 v[10:11], v[10:11], v[14:15]
	s_and_saveexec_b64 s[8:9], s[4:5]
; %bb.14:                               ;   in Loop: Header=BB28_8 Depth=1
	ds_write2_b64 v18, v[8:9], v[10:11] offset1:1
; %bb.15:                               ;   in Loop: Header=BB28_8 Depth=1
	s_or_b64 exec, exec, s[8:9]
	s_mov_b64 s[20:21], 0
	s_mov_b64 s[8:9], 0
	s_waitcnt vmcnt(0) lgkmcnt(0)
	s_barrier
                                        ; implicit-def: $vgpr12_vgpr13
                                        ; implicit-def: $vgpr14_vgpr15
	s_and_saveexec_b64 s[24:25], s[6:7]
	s_xor_b64 s[24:25], exec, s[24:25]
	s_cbranch_execz .LBB28_17
; %bb.16:                               ;   in Loop: Header=BB28_8 Depth=1
	ds_read_b128 v[12:15], v19 offset:32784
	ds_read_b128 v[23:26], v19 offset:32800
	s_mov_b64 s[8:9], exec
	s_waitcnt lgkmcnt(1)
	v_add_f64 v[8:9], v[8:9], v[12:13]
	v_add_f64 v[10:11], v[10:11], v[14:15]
	s_waitcnt lgkmcnt(0)
	v_add_f64 v[23:24], v[8:9], v[23:24]
	v_add_f64 v[25:26], v[10:11], v[25:26]
	ds_read_b128 v[8:11], v19 offset:32816
	ds_read_b128 v[12:15], v19 offset:32832
	s_waitcnt lgkmcnt(1)
	v_add_f64 v[8:9], v[23:24], v[8:9]
	v_add_f64 v[10:11], v[25:26], v[10:11]
	s_waitcnt lgkmcnt(0)
	v_add_f64 v[23:24], v[8:9], v[12:13]
	v_add_f64 v[25:26], v[10:11], v[14:15]
	ds_read_b128 v[8:11], v19 offset:32848
	ds_read_b128 v[12:15], v19 offset:32864
	s_waitcnt lgkmcnt(1)
	v_add_f64 v[8:9], v[23:24], v[8:9]
	v_add_f64 v[10:11], v[25:26], v[10:11]
	s_waitcnt lgkmcnt(0)
	v_add_f64 v[12:13], v[8:9], v[12:13]
	v_add_f64 v[23:24], v[10:11], v[14:15]
	ds_read_b128 v[8:11], v19 offset:32880
	s_waitcnt lgkmcnt(0)
	v_add_f64 v[14:15], v[12:13], v[8:9]
	v_add_f64 v[12:13], v[23:24], v[10:11]
.LBB28_17:                              ;   in Loop: Header=BB28_8 Depth=1
	s_or_b64 exec, exec, s[24:25]
	s_and_b64 vcc, exec, s[20:21]
	s_cbranch_vccnz .LBB28_20
.LBB28_18:                              ;   in Loop: Header=BB28_8 Depth=1
	v_mov_b32_e32 v4, v12
	v_mov_b32_e32 v2, v14
	;; [unrolled: 1-line block ×4, first 2 shown]
	s_and_saveexec_b64 s[20:21], s[8:9]
	s_cbranch_execnz .LBB28_21
	s_branch .LBB28_22
.LBB28_19:                              ;   in Loop: Header=BB28_8 Depth=1
	s_mov_b64 s[8:9], 0
                                        ; implicit-def: $vgpr12_vgpr13
                                        ; implicit-def: $vgpr14_vgpr15
	s_cbranch_execz .LBB28_18
.LBB28_20:                              ;   in Loop: Header=BB28_8 Depth=1
	s_andn2_b64 s[8:9], s[8:9], exec
	s_and_b64 s[20:21], s[6:7], exec
	s_or_b64 s[8:9], s[8:9], s[20:21]
	s_and_saveexec_b64 s[20:21], s[8:9]
.LBB28_21:                              ;   in Loop: Header=BB28_8 Depth=1
	ds_write_b128 v19, v[2:5] offset:32768
.LBB28_22:                              ;   in Loop: Header=BB28_8 Depth=1
	s_or_b64 exec, exec, s[20:21]
	s_waitcnt vmcnt(0) lgkmcnt(0)
	s_barrier
	s_and_saveexec_b64 s[8:9], s[0:1]
	s_cbranch_execz .LBB28_7
; %bb.23:                               ;   in Loop: Header=BB28_8 Depth=1
	global_load_dwordx4 v[2:5], v19, s[18:19]
	ds_read_b128 v[8:11], v19 offset:32768
	s_mov_b64 s[20:21], 0
	s_waitcnt vmcnt(0) lgkmcnt(0)
	v_mul_f64 v[12:13], v[2:3], v[8:9]
	v_mul_f64 v[14:15], v[2:3], v[10:11]
	v_fma_f64 v[2:3], v[4:5], v[10:11], -v[12:13]
	v_fma_f64 v[4:5], v[8:9], -v[4:5], -v[14:15]
	v_mov_b32_e32 v9, v7
	v_mov_b32_e32 v11, v1
	;; [unrolled: 1-line block ×5, first 2 shown]
.LBB28_24:                              ;   Parent Loop BB28_8 Depth=1
                                        ; =>  This Inner Loop Header: Depth=2
	global_load_dwordx4 v[23:26], v[8:9], off offset:-8
	ds_read_b128 v[27:30], v12
	v_add_co_u32_e32 v10, vcc, s29, v10
	v_addc_co_u32_e32 v11, vcc, 0, v11, vcc
	s_waitcnt lgkmcnt(0)
	v_mul_f64 v[13:14], v[4:5], v[29:30]
	v_mul_f64 v[29:30], v[2:3], v[29:30]
	v_cmp_le_i64_e32 vcc, s[14:15], v[10:11]
	v_add_u32_e32 v12, 0x2000, v12
	s_or_b64 s[20:21], vcc, s[20:21]
	v_fma_f64 v[13:14], v[2:3], v[27:28], v[13:14]
	v_fma_f64 v[27:28], v[4:5], v[27:28], -v[29:30]
	s_waitcnt vmcnt(0)
	v_add_f64 v[23:24], v[23:24], v[13:14]
	v_add_f64 v[25:26], v[27:28], v[25:26]
	v_mov_b32_e32 v13, s17
	global_store_dwordx4 v[8:9], v[23:26], off offset:-8
	v_add_co_u32_e32 v8, vcc, s16, v8
	v_addc_co_u32_e32 v9, vcc, v9, v13, vcc
	s_andn2_b64 exec, exec, s[20:21]
	s_cbranch_execnz .LBB28_24
	s_branch .LBB28_7
.LBB28_25:
	s_endpgm
	.section	.rodata,"a",@progbits
	.p2align	6, 0x0
	.amdhsa_kernel _ZN9rocsolver6v33100L23larf_right_kernel_smallILi512E19rocblas_complex_numIdElPS3_EEvT1_S5_T2_lS5_lPKT0_lS6_lS5_l
		.amdhsa_group_segment_fixed_size 32896
		.amdhsa_private_segment_fixed_size 0
		.amdhsa_kernarg_size 96
		.amdhsa_user_sgpr_count 6
		.amdhsa_user_sgpr_private_segment_buffer 1
		.amdhsa_user_sgpr_dispatch_ptr 0
		.amdhsa_user_sgpr_queue_ptr 0
		.amdhsa_user_sgpr_kernarg_segment_ptr 1
		.amdhsa_user_sgpr_dispatch_id 0
		.amdhsa_user_sgpr_flat_scratch_init 0
		.amdhsa_user_sgpr_private_segment_size 0
		.amdhsa_uses_dynamic_stack 0
		.amdhsa_system_sgpr_private_segment_wavefront_offset 0
		.amdhsa_system_sgpr_workgroup_id_x 1
		.amdhsa_system_sgpr_workgroup_id_y 1
		.amdhsa_system_sgpr_workgroup_id_z 0
		.amdhsa_system_sgpr_workgroup_info 0
		.amdhsa_system_vgpr_workitem_id 0
		.amdhsa_next_free_vgpr 85
		.amdhsa_next_free_sgpr 98
		.amdhsa_reserve_vcc 1
		.amdhsa_reserve_flat_scratch 0
		.amdhsa_float_round_mode_32 0
		.amdhsa_float_round_mode_16_64 0
		.amdhsa_float_denorm_mode_32 3
		.amdhsa_float_denorm_mode_16_64 3
		.amdhsa_dx10_clamp 1
		.amdhsa_ieee_mode 1
		.amdhsa_fp16_overflow 0
		.amdhsa_exception_fp_ieee_invalid_op 0
		.amdhsa_exception_fp_denorm_src 0
		.amdhsa_exception_fp_ieee_div_zero 0
		.amdhsa_exception_fp_ieee_overflow 0
		.amdhsa_exception_fp_ieee_underflow 0
		.amdhsa_exception_fp_ieee_inexact 0
		.amdhsa_exception_int_div_zero 0
	.end_amdhsa_kernel
	.section	.text._ZN9rocsolver6v33100L23larf_right_kernel_smallILi512E19rocblas_complex_numIdElPS3_EEvT1_S5_T2_lS5_lPKT0_lS6_lS5_l,"axG",@progbits,_ZN9rocsolver6v33100L23larf_right_kernel_smallILi512E19rocblas_complex_numIdElPS3_EEvT1_S5_T2_lS5_lPKT0_lS6_lS5_l,comdat
.Lfunc_end28:
	.size	_ZN9rocsolver6v33100L23larf_right_kernel_smallILi512E19rocblas_complex_numIdElPS3_EEvT1_S5_T2_lS5_lPKT0_lS6_lS5_l, .Lfunc_end28-_ZN9rocsolver6v33100L23larf_right_kernel_smallILi512E19rocblas_complex_numIdElPS3_EEvT1_S5_T2_lS5_lPKT0_lS6_lS5_l
                                        ; -- End function
	.set _ZN9rocsolver6v33100L23larf_right_kernel_smallILi512E19rocblas_complex_numIdElPS3_EEvT1_S5_T2_lS5_lPKT0_lS6_lS5_l.num_vgpr, 31
	.set _ZN9rocsolver6v33100L23larf_right_kernel_smallILi512E19rocblas_complex_numIdElPS3_EEvT1_S5_T2_lS5_lPKT0_lS6_lS5_l.num_agpr, 0
	.set _ZN9rocsolver6v33100L23larf_right_kernel_smallILi512E19rocblas_complex_numIdElPS3_EEvT1_S5_T2_lS5_lPKT0_lS6_lS5_l.numbered_sgpr, 32
	.set _ZN9rocsolver6v33100L23larf_right_kernel_smallILi512E19rocblas_complex_numIdElPS3_EEvT1_S5_T2_lS5_lPKT0_lS6_lS5_l.num_named_barrier, 0
	.set _ZN9rocsolver6v33100L23larf_right_kernel_smallILi512E19rocblas_complex_numIdElPS3_EEvT1_S5_T2_lS5_lPKT0_lS6_lS5_l.private_seg_size, 0
	.set _ZN9rocsolver6v33100L23larf_right_kernel_smallILi512E19rocblas_complex_numIdElPS3_EEvT1_S5_T2_lS5_lPKT0_lS6_lS5_l.uses_vcc, 1
	.set _ZN9rocsolver6v33100L23larf_right_kernel_smallILi512E19rocblas_complex_numIdElPS3_EEvT1_S5_T2_lS5_lPKT0_lS6_lS5_l.uses_flat_scratch, 0
	.set _ZN9rocsolver6v33100L23larf_right_kernel_smallILi512E19rocblas_complex_numIdElPS3_EEvT1_S5_T2_lS5_lPKT0_lS6_lS5_l.has_dyn_sized_stack, 0
	.set _ZN9rocsolver6v33100L23larf_right_kernel_smallILi512E19rocblas_complex_numIdElPS3_EEvT1_S5_T2_lS5_lPKT0_lS6_lS5_l.has_recursion, 0
	.set _ZN9rocsolver6v33100L23larf_right_kernel_smallILi512E19rocblas_complex_numIdElPS3_EEvT1_S5_T2_lS5_lPKT0_lS6_lS5_l.has_indirect_call, 0
	.section	.AMDGPU.csdata,"",@progbits
; Kernel info:
; codeLenInByte = 1804
; TotalNumSgprs: 36
; NumVgprs: 31
; ScratchSize: 0
; MemoryBound: 0
; FloatMode: 240
; IeeeMode: 1
; LDSByteSize: 32896 bytes/workgroup (compile time only)
; SGPRBlocks: 12
; VGPRBlocks: 21
; NumSGPRsForWavesPerEU: 102
; NumVGPRsForWavesPerEU: 85
; Occupancy: 2
; WaveLimiterHint : 0
; COMPUTE_PGM_RSRC2:SCRATCH_EN: 0
; COMPUTE_PGM_RSRC2:USER_SGPR: 6
; COMPUTE_PGM_RSRC2:TRAP_HANDLER: 0
; COMPUTE_PGM_RSRC2:TGID_X_EN: 1
; COMPUTE_PGM_RSRC2:TGID_Y_EN: 1
; COMPUTE_PGM_RSRC2:TGID_Z_EN: 0
; COMPUTE_PGM_RSRC2:TIDIG_COMP_CNT: 0
	.section	.text._ZN9rocsolver6v33100L23larf_right_kernel_smallILi1024E19rocblas_complex_numIdElPS3_EEvT1_S5_T2_lS5_lPKT0_lS6_lS5_l,"axG",@progbits,_ZN9rocsolver6v33100L23larf_right_kernel_smallILi1024E19rocblas_complex_numIdElPS3_EEvT1_S5_T2_lS5_lPKT0_lS6_lS5_l,comdat
	.globl	_ZN9rocsolver6v33100L23larf_right_kernel_smallILi1024E19rocblas_complex_numIdElPS3_EEvT1_S5_T2_lS5_lPKT0_lS6_lS5_l ; -- Begin function _ZN9rocsolver6v33100L23larf_right_kernel_smallILi1024E19rocblas_complex_numIdElPS3_EEvT1_S5_T2_lS5_lPKT0_lS6_lS5_l
	.p2align	8
	.type	_ZN9rocsolver6v33100L23larf_right_kernel_smallILi1024E19rocblas_complex_numIdElPS3_EEvT1_S5_T2_lS5_lPKT0_lS6_lS5_l,@function
_ZN9rocsolver6v33100L23larf_right_kernel_smallILi1024E19rocblas_complex_numIdElPS3_EEvT1_S5_T2_lS5_lPKT0_lS6_lS5_l: ; @_ZN9rocsolver6v33100L23larf_right_kernel_smallILi1024E19rocblas_complex_numIdElPS3_EEvT1_S5_T2_lS5_lPKT0_lS6_lS5_l
; %bb.0:
	s_load_dwordx16 s[12:27], s[4:5], 0x0
	s_mov_b32 s10, s7
	s_mov_b64 s[2:3], 0
	s_waitcnt lgkmcnt(0)
	v_cmp_gt_i64_e64 s[0:1], s[20:21], 0
	s_and_b64 vcc, exec, s[0:1]
	s_cbranch_vccnz .LBB29_2
; %bb.1:
	s_sub_u32 s0, 1, s14
	s_subb_u32 s1, 0, s15
	s_mul_i32 s1, s20, s1
	s_mul_hi_u32 s2, s20, s0
	s_add_i32 s1, s2, s1
	s_mul_i32 s2, s21, s0
	s_add_i32 s3, s1, s2
	s_mul_i32 s2, s20, s0
.LBB29_2:
	v_mov_b32_e32 v1, 0
	v_cmp_gt_i64_e64 s[0:1], s[14:15], v[0:1]
	v_lshlrev_b32_e32 v16, 4, v0
	s_and_saveexec_b64 s[8:9], s[0:1]
	s_cbranch_execz .LBB29_5
; %bb.3:
	v_mad_u64_u32 v[2:3], s[28:29], s20, v0, 0
	s_mul_i32 s7, s23, s6
	s_mul_hi_u32 s11, s22, s6
	s_add_i32 s23, s11, s7
	s_mul_i32 s22, s22, s6
	s_lshl_b64 s[22:23], s[22:23], 4
	s_lshl_b64 s[2:3], s[2:3], 4
	;; [unrolled: 1-line block ×3, first 2 shown]
	v_mad_u64_u32 v[3:4], s[28:29], s21, v0, v[3:4]
	s_add_u32 s7, s16, s18
	s_addc_u32 s11, s17, s19
	s_add_u32 s2, s7, s2
	s_addc_u32 s3, s11, s3
	v_lshlrev_b64 v[2:3], 4, v[2:3]
	s_add_u32 s2, s2, s22
	s_addc_u32 s3, s3, s23
	v_mov_b32_e32 v4, s3
	v_add_co_u32_e32 v2, vcc, s2, v2
	v_addc_co_u32_e32 v3, vcc, v4, v3, vcc
	s_lshl_b64 s[16:17], s[20:21], 14
	v_mov_b32_e32 v5, v1
	v_lshlrev_b32_e32 v6, 4, v0
	s_mov_b64 s[18:19], 0
	v_mov_b32_e32 v7, s17
	v_mov_b32_e32 v4, v0
.LBB29_4:                               ; =>This Inner Loop Header: Depth=1
	global_load_dwordx4 v[8:11], v[2:3], off
	v_add_co_u32_e32 v4, vcc, 0x400, v4
	v_addc_co_u32_e32 v5, vcc, 0, v5, vcc
	v_cmp_le_i64_e32 vcc, s[14:15], v[4:5]
	v_add_co_u32_e64 v2, s[2:3], s16, v2
	v_addc_co_u32_e64 v3, s[2:3], v3, v7, s[2:3]
	s_or_b64 s[18:19], vcc, s[18:19]
	s_waitcnt vmcnt(0)
	ds_write2_b64 v6, v[8:9], v[10:11] offset1:1
	v_add_u32_e32 v6, 0x4000, v6
	s_andn2_b64 exec, exec, s[18:19]
	s_cbranch_execnz .LBB29_4
.LBB29_5:
	s_or_b64 exec, exec, s[8:9]
	s_mov_b32 s11, 0
	v_mov_b32_e32 v2, s10
	v_mov_b32_e32 v3, s11
	v_cmp_le_i64_e32 vcc, s[12:13], v[2:3]
	s_waitcnt lgkmcnt(0)
	s_barrier
	s_cbranch_vccnz .LBB29_25
; %bb.6:
	s_load_dwordx8 s[16:23], s[4:5], 0x40
	s_mul_i32 s4, s27, s6
	v_and_b32_e32 v4, 63, v0
	v_lshrrev_b32_e32 v5, 2, v0
	s_movk_i32 s29, 0x400
	s_waitcnt lgkmcnt(0)
	s_mul_i32 s3, s23, s6
	s_mul_hi_u32 s5, s22, s6
	s_mul_i32 s2, s22, s6
	s_add_i32 s3, s5, s3
	s_lshl_b64 s[8:9], s[2:3], 4
	s_add_u32 s2, s16, s8
	s_addc_u32 s3, s17, s9
	s_lshl_b64 s[30:31], s[18:19], 4
	s_add_u32 s27, s2, s30
	s_mul_hi_u32 s2, s26, s6
	s_addc_u32 s28, s3, s31
	s_add_i32 s3, s2, s4
	s_mul_i32 s2, s26, s6
	s_lshl_b64 s[2:3], s[2:3], 4
	s_add_u32 s18, s24, s2
	v_mad_u64_u32 v[2:3], s[4:5], s20, v0, 0
	s_addc_u32 s19, s25, s3
	s_cmp_gt_i32 s14, 1
	s_cselect_b64 s[22:23], -1, 0
	s_lshl_b32 s26, s20, 10
	s_lshl_b64 s[24:25], s[10:11], 4
	v_cmp_eq_u32_e64 s[4:5], 0, v4
	v_mad_u64_u32 v[3:4], s[6:7], s21, v0, v[3:4]
	s_add_u32 s16, s16, s24
	s_addc_u32 s17, s17, s25
	s_add_u32 s16, s16, s30
	s_addc_u32 s17, s17, s31
	v_lshlrev_b64 v[2:3], 4, v[2:3]
	s_add_u32 s8, s16, s8
	s_addc_u32 s9, s17, s9
	v_mov_b32_e32 v4, s9
	v_add_co_u32_e32 v2, vcc, s8, v2
	v_mul_lo_u32 v17, v0, s20
	v_addc_co_u32_e32 v3, vcc, v4, v3, vcc
	v_add_co_u32_e32 v6, vcc, 8, v2
	v_mbcnt_lo_u32_b32 v2, -1, 0
	v_mbcnt_hi_u32_b32 v20, -1, v2
	v_mov_b32_e32 v2, 0x80
	v_cmp_gt_i32_e64 s[2:3], s14, v0
	v_cmp_eq_u32_e64 s[6:7], 0, v0
	v_addc_co_u32_e32 v7, vcc, 0, v3, vcc
	s_lshl_b64 s[16:17], s[20:21], 14
	v_or_b32_e32 v18, 0x8000, v5
	v_mov_b32_e32 v19, 0
	v_and_b32_e32 v21, 63, v20
	v_lshl_or_b32 v22, v20, 2, v2
	s_branch .LBB29_8
.LBB29_7:                               ;   in Loop: Header=BB29_8 Depth=1
	s_or_b64 exec, exec, s[8:9]
	s_add_u32 s10, s10, 64
	v_mov_b32_e32 v2, s12
	s_addc_u32 s11, s11, 0
	v_mov_b32_e32 v3, s13
	v_add_co_u32_e32 v6, vcc, 0x400, v6
	v_cmp_ge_i64_e64 s[8:9], s[10:11], v[2:3]
	v_addc_co_u32_e32 v7, vcc, 0, v7, vcc
	s_and_b64 vcc, exec, s[8:9]
	s_cbranch_vccnz .LBB29_25
.LBB29_8:                               ; =>This Loop Header: Depth=1
                                        ;     Child Loop BB29_10 Depth 2
                                        ;     Child Loop BB29_24 Depth 2
	v_mov_b32_e32 v4, 0
	v_mov_b32_e32 v2, 0
	;; [unrolled: 1-line block ×4, first 2 shown]
	s_and_saveexec_b64 s[8:9], s[2:3]
	s_cbranch_execz .LBB29_12
; %bb.9:                                ;   in Loop: Header=BB29_8 Depth=1
	s_lshl_b64 s[20:21], s[10:11], 4
	s_add_u32 s24, s27, s20
	s_addc_u32 s25, s28, s21
	v_mov_b32_e32 v4, 0
	v_mov_b32_e32 v2, 0
	;; [unrolled: 1-line block ×3, first 2 shown]
	s_mov_b64 s[20:21], 0
	v_mov_b32_e32 v10, s25
	v_mov_b32_e32 v8, v17
	;; [unrolled: 1-line block ×5, first 2 shown]
.LBB29_10:                              ;   Parent Loop BB29_8 Depth=1
                                        ; =>  This Inner Loop Header: Depth=2
	v_ashrrev_i32_e32 v9, 31, v8
	v_lshlrev_b64 v[13:14], 4, v[8:9]
	ds_read_b128 v[27:30], v11
	v_add_co_u32_e32 v13, vcc, s24, v13
	v_addc_co_u32_e32 v14, vcc, v10, v14, vcc
	global_load_dwordx4 v[23:26], v[13:14], off
	v_add_u32_e32 v12, 0x400, v12
	v_cmp_le_i32_e32 vcc, s14, v12
	v_add_u32_e32 v11, 0x4000, v11
	s_or_b64 s[20:21], vcc, s[20:21]
	v_add_u32_e32 v8, s26, v8
	s_waitcnt vmcnt(0) lgkmcnt(0)
	v_mul_f64 v[13:14], v[25:26], v[29:30]
	v_mul_f64 v[29:30], v[23:24], v[29:30]
	v_fma_f64 v[13:14], v[23:24], v[27:28], -v[13:14]
	v_fma_f64 v[23:24], v[25:26], v[27:28], v[29:30]
	v_add_f64 v[2:3], v[2:3], v[13:14]
	v_add_f64 v[4:5], v[4:5], v[23:24]
	s_andn2_b64 exec, exec, s[20:21]
	s_cbranch_execnz .LBB29_10
; %bb.11:                               ;   in Loop: Header=BB29_8 Depth=1
	s_or_b64 exec, exec, s[20:21]
.LBB29_12:                              ;   in Loop: Header=BB29_8 Depth=1
	s_or_b64 exec, exec, s[8:9]
	s_and_b64 vcc, exec, s[22:23]
	s_cbranch_vccz .LBB29_19
; %bb.13:                               ;   in Loop: Header=BB29_8 Depth=1
	v_cmp_ne_u32_e32 vcc, 63, v21
	v_addc_co_u32_e32 v8, vcc, 0, v20, vcc
	v_lshlrev_b32_e32 v11, 2, v8
	ds_bpermute_b32 v8, v11, v2
	ds_bpermute_b32 v9, v11, v3
	;; [unrolled: 1-line block ×4, first 2 shown]
	v_cmp_gt_u32_e32 vcc, 62, v21
	v_cndmask_b32_e64 v12, 0, 2, vcc
	s_waitcnt lgkmcnt(2)
	v_add_f64 v[8:9], v[2:3], v[8:9]
	v_add_lshl_u32 v15, v12, v20, 2
	s_waitcnt lgkmcnt(0)
	v_add_f64 v[10:11], v[4:5], v[10:11]
	v_cmp_gt_u32_e32 vcc, 60, v21
	ds_bpermute_b32 v12, v15, v8
	ds_bpermute_b32 v13, v15, v9
	ds_bpermute_b32 v14, v15, v10
	ds_bpermute_b32 v15, v15, v11
	s_waitcnt lgkmcnt(2)
	v_add_f64 v[8:9], v[8:9], v[12:13]
	v_cndmask_b32_e64 v12, 0, 4, vcc
	s_waitcnt lgkmcnt(0)
	v_add_f64 v[10:11], v[10:11], v[14:15]
	v_add_lshl_u32 v15, v12, v20, 2
	v_cmp_gt_u32_e32 vcc, 56, v21
	ds_bpermute_b32 v12, v15, v8
	ds_bpermute_b32 v13, v15, v9
	ds_bpermute_b32 v14, v15, v10
	ds_bpermute_b32 v15, v15, v11
	s_waitcnt lgkmcnt(2)
	v_add_f64 v[8:9], v[8:9], v[12:13]
	v_cndmask_b32_e64 v12, 0, 8, vcc
	s_waitcnt lgkmcnt(0)
	v_add_f64 v[10:11], v[10:11], v[14:15]
	v_add_lshl_u32 v15, v12, v20, 2
	;; [unrolled: 11-line block ×3, first 2 shown]
	ds_bpermute_b32 v12, v15, v8
	ds_bpermute_b32 v13, v15, v9
	ds_bpermute_b32 v14, v15, v10
	ds_bpermute_b32 v15, v15, v11
	s_waitcnt lgkmcnt(2)
	v_add_f64 v[8:9], v[8:9], v[12:13]
	s_waitcnt lgkmcnt(0)
	v_add_f64 v[10:11], v[10:11], v[14:15]
	ds_bpermute_b32 v12, v22, v8
	ds_bpermute_b32 v13, v22, v9
	;; [unrolled: 1-line block ×4, first 2 shown]
	s_waitcnt lgkmcnt(2)
	v_add_f64 v[8:9], v[8:9], v[12:13]
	s_waitcnt lgkmcnt(0)
	v_add_f64 v[10:11], v[10:11], v[14:15]
	s_and_saveexec_b64 s[8:9], s[4:5]
; %bb.14:                               ;   in Loop: Header=BB29_8 Depth=1
	ds_write2_b64 v18, v[8:9], v[10:11] offset1:1
; %bb.15:                               ;   in Loop: Header=BB29_8 Depth=1
	s_or_b64 exec, exec, s[8:9]
	s_mov_b64 s[20:21], 0
	s_mov_b64 s[8:9], 0
	s_waitcnt vmcnt(0) lgkmcnt(0)
	s_barrier
                                        ; implicit-def: $vgpr12_vgpr13
                                        ; implicit-def: $vgpr14_vgpr15
	s_and_saveexec_b64 s[24:25], s[6:7]
	s_xor_b64 s[24:25], exec, s[24:25]
	s_cbranch_execz .LBB29_17
; %bb.16:                               ;   in Loop: Header=BB29_8 Depth=1
	ds_read_b128 v[12:15], v19 offset:32784
	ds_read_b128 v[23:26], v19 offset:32800
	s_mov_b64 s[8:9], exec
	s_waitcnt lgkmcnt(1)
	v_add_f64 v[8:9], v[8:9], v[12:13]
	v_add_f64 v[10:11], v[10:11], v[14:15]
	s_waitcnt lgkmcnt(0)
	v_add_f64 v[23:24], v[8:9], v[23:24]
	v_add_f64 v[25:26], v[10:11], v[25:26]
	ds_read_b128 v[8:11], v19 offset:32816
	ds_read_b128 v[12:15], v19 offset:32832
	s_waitcnt lgkmcnt(1)
	v_add_f64 v[8:9], v[23:24], v[8:9]
	v_add_f64 v[10:11], v[25:26], v[10:11]
	s_waitcnt lgkmcnt(0)
	v_add_f64 v[23:24], v[8:9], v[12:13]
	v_add_f64 v[25:26], v[10:11], v[14:15]
	ds_read_b128 v[8:11], v19 offset:32848
	ds_read_b128 v[12:15], v19 offset:32864
	;; [unrolled: 8-line block ×6, first 2 shown]
	s_waitcnt lgkmcnt(1)
	v_add_f64 v[8:9], v[23:24], v[8:9]
	v_add_f64 v[10:11], v[25:26], v[10:11]
	s_waitcnt lgkmcnt(0)
	v_add_f64 v[12:13], v[8:9], v[12:13]
	v_add_f64 v[23:24], v[10:11], v[14:15]
	ds_read_b128 v[8:11], v19 offset:33008
	s_waitcnt lgkmcnt(0)
	v_add_f64 v[14:15], v[12:13], v[8:9]
	v_add_f64 v[12:13], v[23:24], v[10:11]
.LBB29_17:                              ;   in Loop: Header=BB29_8 Depth=1
	s_or_b64 exec, exec, s[24:25]
	s_and_b64 vcc, exec, s[20:21]
	s_cbranch_vccnz .LBB29_20
.LBB29_18:                              ;   in Loop: Header=BB29_8 Depth=1
	v_mov_b32_e32 v4, v12
	v_mov_b32_e32 v2, v14
	;; [unrolled: 1-line block ×4, first 2 shown]
	s_and_saveexec_b64 s[20:21], s[8:9]
	s_cbranch_execnz .LBB29_21
	s_branch .LBB29_22
.LBB29_19:                              ;   in Loop: Header=BB29_8 Depth=1
	s_mov_b64 s[8:9], 0
                                        ; implicit-def: $vgpr12_vgpr13
                                        ; implicit-def: $vgpr14_vgpr15
	s_cbranch_execz .LBB29_18
.LBB29_20:                              ;   in Loop: Header=BB29_8 Depth=1
	s_andn2_b64 s[8:9], s[8:9], exec
	s_and_b64 s[20:21], s[6:7], exec
	s_or_b64 s[8:9], s[8:9], s[20:21]
	s_and_saveexec_b64 s[20:21], s[8:9]
.LBB29_21:                              ;   in Loop: Header=BB29_8 Depth=1
	ds_write_b128 v19, v[2:5] offset:32768
.LBB29_22:                              ;   in Loop: Header=BB29_8 Depth=1
	s_or_b64 exec, exec, s[20:21]
	s_waitcnt vmcnt(0) lgkmcnt(0)
	s_barrier
	s_and_saveexec_b64 s[8:9], s[0:1]
	s_cbranch_execz .LBB29_7
; %bb.23:                               ;   in Loop: Header=BB29_8 Depth=1
	global_load_dwordx4 v[2:5], v19, s[18:19]
	ds_read_b128 v[8:11], v19 offset:32768
	s_mov_b64 s[20:21], 0
	s_waitcnt vmcnt(0) lgkmcnt(0)
	v_mul_f64 v[12:13], v[2:3], v[8:9]
	v_mul_f64 v[14:15], v[2:3], v[10:11]
	v_fma_f64 v[2:3], v[4:5], v[10:11], -v[12:13]
	v_fma_f64 v[4:5], v[8:9], -v[4:5], -v[14:15]
	v_mov_b32_e32 v9, v7
	v_mov_b32_e32 v11, v1
	;; [unrolled: 1-line block ×5, first 2 shown]
.LBB29_24:                              ;   Parent Loop BB29_8 Depth=1
                                        ; =>  This Inner Loop Header: Depth=2
	global_load_dwordx4 v[23:26], v[8:9], off offset:-8
	ds_read_b128 v[27:30], v12
	v_add_co_u32_e32 v10, vcc, s29, v10
	v_addc_co_u32_e32 v11, vcc, 0, v11, vcc
	s_waitcnt lgkmcnt(0)
	v_mul_f64 v[13:14], v[4:5], v[29:30]
	v_mul_f64 v[29:30], v[2:3], v[29:30]
	v_cmp_le_i64_e32 vcc, s[14:15], v[10:11]
	v_add_u32_e32 v12, 0x4000, v12
	s_or_b64 s[20:21], vcc, s[20:21]
	v_fma_f64 v[13:14], v[2:3], v[27:28], v[13:14]
	v_fma_f64 v[27:28], v[4:5], v[27:28], -v[29:30]
	s_waitcnt vmcnt(0)
	v_add_f64 v[23:24], v[23:24], v[13:14]
	v_add_f64 v[25:26], v[27:28], v[25:26]
	v_mov_b32_e32 v13, s17
	global_store_dwordx4 v[8:9], v[23:26], off offset:-8
	v_add_co_u32_e32 v8, vcc, s16, v8
	v_addc_co_u32_e32 v9, vcc, v9, v13, vcc
	s_andn2_b64 exec, exec, s[20:21]
	s_cbranch_execnz .LBB29_24
	s_branch .LBB29_7
.LBB29_25:
	s_endpgm
	.section	.rodata,"a",@progbits
	.p2align	6, 0x0
	.amdhsa_kernel _ZN9rocsolver6v33100L23larf_right_kernel_smallILi1024E19rocblas_complex_numIdElPS3_EEvT1_S5_T2_lS5_lPKT0_lS6_lS5_l
		.amdhsa_group_segment_fixed_size 33024
		.amdhsa_private_segment_fixed_size 0
		.amdhsa_kernarg_size 96
		.amdhsa_user_sgpr_count 6
		.amdhsa_user_sgpr_private_segment_buffer 1
		.amdhsa_user_sgpr_dispatch_ptr 0
		.amdhsa_user_sgpr_queue_ptr 0
		.amdhsa_user_sgpr_kernarg_segment_ptr 1
		.amdhsa_user_sgpr_dispatch_id 0
		.amdhsa_user_sgpr_flat_scratch_init 0
		.amdhsa_user_sgpr_private_segment_size 0
		.amdhsa_uses_dynamic_stack 0
		.amdhsa_system_sgpr_private_segment_wavefront_offset 0
		.amdhsa_system_sgpr_workgroup_id_x 1
		.amdhsa_system_sgpr_workgroup_id_y 1
		.amdhsa_system_sgpr_workgroup_id_z 0
		.amdhsa_system_sgpr_workgroup_info 0
		.amdhsa_system_vgpr_workitem_id 0
		.amdhsa_next_free_vgpr 49
		.amdhsa_next_free_sgpr 98
		.amdhsa_reserve_vcc 1
		.amdhsa_reserve_flat_scratch 0
		.amdhsa_float_round_mode_32 0
		.amdhsa_float_round_mode_16_64 0
		.amdhsa_float_denorm_mode_32 3
		.amdhsa_float_denorm_mode_16_64 3
		.amdhsa_dx10_clamp 1
		.amdhsa_ieee_mode 1
		.amdhsa_fp16_overflow 0
		.amdhsa_exception_fp_ieee_invalid_op 0
		.amdhsa_exception_fp_denorm_src 0
		.amdhsa_exception_fp_ieee_div_zero 0
		.amdhsa_exception_fp_ieee_overflow 0
		.amdhsa_exception_fp_ieee_underflow 0
		.amdhsa_exception_fp_ieee_inexact 0
		.amdhsa_exception_int_div_zero 0
	.end_amdhsa_kernel
	.section	.text._ZN9rocsolver6v33100L23larf_right_kernel_smallILi1024E19rocblas_complex_numIdElPS3_EEvT1_S5_T2_lS5_lPKT0_lS6_lS5_l,"axG",@progbits,_ZN9rocsolver6v33100L23larf_right_kernel_smallILi1024E19rocblas_complex_numIdElPS3_EEvT1_S5_T2_lS5_lPKT0_lS6_lS5_l,comdat
.Lfunc_end29:
	.size	_ZN9rocsolver6v33100L23larf_right_kernel_smallILi1024E19rocblas_complex_numIdElPS3_EEvT1_S5_T2_lS5_lPKT0_lS6_lS5_l, .Lfunc_end29-_ZN9rocsolver6v33100L23larf_right_kernel_smallILi1024E19rocblas_complex_numIdElPS3_EEvT1_S5_T2_lS5_lPKT0_lS6_lS5_l
                                        ; -- End function
	.set _ZN9rocsolver6v33100L23larf_right_kernel_smallILi1024E19rocblas_complex_numIdElPS3_EEvT1_S5_T2_lS5_lPKT0_lS6_lS5_l.num_vgpr, 31
	.set _ZN9rocsolver6v33100L23larf_right_kernel_smallILi1024E19rocblas_complex_numIdElPS3_EEvT1_S5_T2_lS5_lPKT0_lS6_lS5_l.num_agpr, 0
	.set _ZN9rocsolver6v33100L23larf_right_kernel_smallILi1024E19rocblas_complex_numIdElPS3_EEvT1_S5_T2_lS5_lPKT0_lS6_lS5_l.numbered_sgpr, 32
	.set _ZN9rocsolver6v33100L23larf_right_kernel_smallILi1024E19rocblas_complex_numIdElPS3_EEvT1_S5_T2_lS5_lPKT0_lS6_lS5_l.num_named_barrier, 0
	.set _ZN9rocsolver6v33100L23larf_right_kernel_smallILi1024E19rocblas_complex_numIdElPS3_EEvT1_S5_T2_lS5_lPKT0_lS6_lS5_l.private_seg_size, 0
	.set _ZN9rocsolver6v33100L23larf_right_kernel_smallILi1024E19rocblas_complex_numIdElPS3_EEvT1_S5_T2_lS5_lPKT0_lS6_lS5_l.uses_vcc, 1
	.set _ZN9rocsolver6v33100L23larf_right_kernel_smallILi1024E19rocblas_complex_numIdElPS3_EEvT1_S5_T2_lS5_lPKT0_lS6_lS5_l.uses_flat_scratch, 0
	.set _ZN9rocsolver6v33100L23larf_right_kernel_smallILi1024E19rocblas_complex_numIdElPS3_EEvT1_S5_T2_lS5_lPKT0_lS6_lS5_l.has_dyn_sized_stack, 0
	.set _ZN9rocsolver6v33100L23larf_right_kernel_smallILi1024E19rocblas_complex_numIdElPS3_EEvT1_S5_T2_lS5_lPKT0_lS6_lS5_l.has_recursion, 0
	.set _ZN9rocsolver6v33100L23larf_right_kernel_smallILi1024E19rocblas_complex_numIdElPS3_EEvT1_S5_T2_lS5_lPKT0_lS6_lS5_l.has_indirect_call, 0
	.section	.AMDGPU.csdata,"",@progbits
; Kernel info:
; codeLenInByte = 2028
; TotalNumSgprs: 36
; NumVgprs: 31
; ScratchSize: 0
; MemoryBound: 0
; FloatMode: 240
; IeeeMode: 1
; LDSByteSize: 33024 bytes/workgroup (compile time only)
; SGPRBlocks: 12
; VGPRBlocks: 12
; NumSGPRsForWavesPerEU: 102
; NumVGPRsForWavesPerEU: 49
; Occupancy: 4
; WaveLimiterHint : 0
; COMPUTE_PGM_RSRC2:SCRATCH_EN: 0
; COMPUTE_PGM_RSRC2:USER_SGPR: 6
; COMPUTE_PGM_RSRC2:TRAP_HANDLER: 0
; COMPUTE_PGM_RSRC2:TGID_X_EN: 1
; COMPUTE_PGM_RSRC2:TGID_Y_EN: 1
; COMPUTE_PGM_RSRC2:TGID_Z_EN: 0
; COMPUTE_PGM_RSRC2:TIDIG_COMP_CNT: 0
	.section	.text._ZN9rocsolver6v33100L22larf_left_kernel_smallILi64E19rocblas_complex_numIdElPKPS3_EEvT1_S7_T2_lS7_lPKT0_lS8_lS7_l,"axG",@progbits,_ZN9rocsolver6v33100L22larf_left_kernel_smallILi64E19rocblas_complex_numIdElPKPS3_EEvT1_S7_T2_lS7_lPKT0_lS8_lS7_l,comdat
	.globl	_ZN9rocsolver6v33100L22larf_left_kernel_smallILi64E19rocblas_complex_numIdElPKPS3_EEvT1_S7_T2_lS7_lPKT0_lS8_lS7_l ; -- Begin function _ZN9rocsolver6v33100L22larf_left_kernel_smallILi64E19rocblas_complex_numIdElPKPS3_EEvT1_S7_T2_lS7_lPKT0_lS8_lS7_l
	.p2align	8
	.type	_ZN9rocsolver6v33100L22larf_left_kernel_smallILi64E19rocblas_complex_numIdElPKPS3_EEvT1_S7_T2_lS7_lPKT0_lS8_lS7_l,@function
_ZN9rocsolver6v33100L22larf_left_kernel_smallILi64E19rocblas_complex_numIdElPKPS3_EEvT1_S7_T2_lS7_lPKT0_lS8_lS7_l: ; @_ZN9rocsolver6v33100L22larf_left_kernel_smallILi64E19rocblas_complex_numIdElPKPS3_EEvT1_S7_T2_lS7_lPKT0_lS8_lS7_l
; %bb.0:
	s_mov_b32 s24, s7
	s_load_dwordx8 s[8:15], s[4:5], 0x0
	s_load_dwordx2 s[2:3], s[4:5], 0x20
	s_load_dwordx8 s[16:23], s[4:5], 0x30
	s_load_dwordx2 s[26:27], s[4:5], 0x50
	s_mov_b32 s7, 0
	s_lshl_b64 s[0:1], s[6:7], 3
	s_waitcnt lgkmcnt(0)
	s_add_u32 s28, s12, s0
	s_addc_u32 s29, s13, s1
	v_cmp_gt_i64_e64 s[4:5], s[2:3], 0
	s_add_u32 s0, s20, s0
	s_addc_u32 s1, s21, s1
	s_mov_b64 s[20:21], 0
	s_and_b64 vcc, exec, s[4:5]
	s_cbranch_vccnz .LBB30_2
; %bb.1:
	s_sub_u32 s4, 1, s8
	s_subb_u32 s5, 0, s9
	s_mul_i32 s5, s2, s5
	s_mul_hi_u32 s7, s2, s4
	s_add_i32 s5, s7, s5
	s_mul_i32 s7, s3, s4
	s_add_i32 s21, s5, s7
	s_mul_i32 s20, s2, s4
.LBB30_2:
	s_load_dwordx2 s[4:5], s[0:1], 0x0
	v_mov_b32_e32 v1, 0
	v_cmp_gt_i64_e64 s[0:1], s[8:9], v[0:1]
	v_lshlrev_b32_e32 v14, 4, v0
	s_and_saveexec_b64 s[12:13], s[0:1]
	s_cbranch_execz .LBB30_5
; %bb.3:
	v_mad_u64_u32 v[2:3], s[30:31], s2, v0, 0
	s_load_dwordx2 s[28:29], s[28:29], 0x0
	s_lshl_b64 s[20:21], s[20:21], 4
	v_mad_u64_u32 v[3:4], s[30:31], s3, v0, v[3:4]
	s_lshl_b64 s[14:15], s[14:15], 4
	s_waitcnt lgkmcnt(0)
	s_add_u32 s7, s28, s14
	s_addc_u32 s14, s29, s15
	v_lshlrev_b64 v[2:3], 4, v[2:3]
	s_add_u32 s7, s7, s20
	s_addc_u32 s14, s14, s21
	v_mov_b32_e32 v4, s14
	v_add_co_u32_e32 v2, vcc, s7, v2
	v_addc_co_u32_e32 v3, vcc, v4, v3, vcc
	s_lshl_b64 s[2:3], s[2:3], 10
	v_mov_b32_e32 v5, v1
	v_lshlrev_b32_e32 v6, 4, v0
	s_mov_b64 s[14:15], 0
	v_mov_b32_e32 v7, s3
	v_mov_b32_e32 v4, v0
.LBB30_4:                               ; =>This Inner Loop Header: Depth=1
	flat_load_dwordx4 v[8:11], v[2:3]
	v_add_co_u32_e32 v4, vcc, 64, v4
	v_addc_co_u32_e32 v5, vcc, 0, v5, vcc
	v_add_co_u32_e32 v2, vcc, s2, v2
	v_addc_co_u32_e32 v3, vcc, v3, v7, vcc
	v_cmp_le_i64_e32 vcc, s[8:9], v[4:5]
	s_or_b64 s[14:15], vcc, s[14:15]
	s_waitcnt vmcnt(0) lgkmcnt(0)
	ds_write2_b64 v6, v[8:9], v[10:11] offset1:1
	v_add_u32_e32 v6, 0x400, v6
	s_andn2_b64 exec, exec, s[14:15]
	s_cbranch_execnz .LBB30_4
.LBB30_5:
	s_or_b64 exec, exec, s[12:13]
	s_mov_b32 s25, 0
	v_mov_b32_e32 v2, s24
	v_mov_b32_e32 v3, s25
	v_cmp_le_i64_e32 vcc, s[10:11], v[2:3]
	s_waitcnt lgkmcnt(0)
	; wave barrier
	s_cbranch_vccnz .LBB30_23
; %bb.6:
	s_mul_i32 s2, s19, s6
	s_mul_hi_u32 s3, s18, s6
	s_add_i32 s3, s3, s2
	s_mul_i32 s2, s18, s6
	s_lshl_b64 s[2:3], s[2:3], 4
	s_add_u32 s6, s16, s2
	s_addc_u32 s7, s17, s3
	s_cmp_gt_i32 s8, 1
	s_mul_i32 s16, s27, s24
	s_mul_hi_u32 s17, s26, s24
	s_cselect_b64 s[12:13], -1, 0
	s_add_i32 s17, s17, s16
	s_mul_i32 s16, s26, s24
	s_lshl_b64 s[16:17], s[16:17], 4
	s_lshl_b64 s[18:19], s[22:23], 4
	s_add_u32 s16, s16, s18
	s_addc_u32 s17, s17, s19
	v_lshrrev_b32_e32 v2, 2, v0
	s_add_u32 s4, s4, s16
	v_lshlrev_b32_e32 v3, 4, v0
	s_addc_u32 s5, s5, s17
	v_or_b32_e32 v16, 0x8000, v2
	v_mbcnt_lo_u32_b32 v2, -1, 0
	v_mov_b32_e32 v4, s5
	v_add_co_u32_e32 v6, vcc, s4, v3
	s_lshl_b64 s[16:17], s[26:27], 10
	v_mov_b32_e32 v8, s10
	v_mbcnt_hi_u32_b32 v18, -1, v2
	v_mov_b32_e32 v2, 0x80
	v_cmp_gt_i32_e64 s[2:3], s8, v0
	v_cmp_eq_u32_e64 s[14:15], 0, v0
	v_mov_b32_e32 v15, 0
	v_addc_co_u32_e32 v7, vcc, 0, v4, vcc
	v_mov_b32_e32 v17, s17
	v_mov_b32_e32 v9, s11
	v_and_b32_e32 v19, 63, v18
	v_lshl_or_b32 v20, v18, 2, v2
	s_branch .LBB30_8
.LBB30_7:                               ;   in Loop: Header=BB30_8 Depth=1
	s_or_b64 exec, exec, s[4:5]
	s_add_u32 s24, s24, 64
	s_addc_u32 s25, s25, 0
	v_cmp_ge_i64_e32 vcc, s[24:25], v[8:9]
	v_add_co_u32_e64 v6, s[4:5], s16, v6
	v_addc_co_u32_e64 v7, s[4:5], v7, v17, s[4:5]
	s_cbranch_vccnz .LBB30_23
.LBB30_8:                               ; =>This Loop Header: Depth=1
                                        ;     Child Loop BB30_10 Depth 2
                                        ;     Child Loop BB30_22 Depth 2
	v_mov_b32_e32 v4, 0
	v_mov_b32_e32 v2, 0
	;; [unrolled: 1-line block ×4, first 2 shown]
	s_and_saveexec_b64 s[10:11], s[2:3]
	s_cbranch_execz .LBB30_12
; %bb.9:                                ;   in Loop: Header=BB30_8 Depth=1
	v_mov_b32_e32 v4, 0
	v_mov_b32_e32 v11, v7
	;; [unrolled: 1-line block ×4, first 2 shown]
	s_mov_b64 s[18:19], 0
	v_mov_b32_e32 v10, v6
	v_mov_b32_e32 v12, v14
	v_mov_b32_e32 v3, 0
	v_mov_b32_e32 v13, v0
.LBB30_10:                              ;   Parent Loop BB30_8 Depth=1
                                        ; =>  This Inner Loop Header: Depth=2
	flat_load_dwordx4 v[21:24], v[10:11]
	ds_read_b128 v[25:28], v12
	v_add_u32_e32 v13, 64, v13
	v_add_co_u32_e32 v10, vcc, 0x400, v10
	v_cmp_le_i32_e64 s[4:5], s8, v13
	v_add_u32_e32 v12, 0x400, v12
	s_or_b64 s[18:19], s[4:5], s[18:19]
	v_addc_co_u32_e32 v11, vcc, 0, v11, vcc
	s_waitcnt vmcnt(0) lgkmcnt(0)
	v_mul_f64 v[29:30], v[23:24], v[27:28]
	v_mul_f64 v[23:24], v[23:24], v[25:26]
	v_fma_f64 v[25:26], v[21:22], v[25:26], v[29:30]
	v_fma_f64 v[21:22], v[21:22], v[27:28], -v[23:24]
	v_add_f64 v[2:3], v[2:3], v[25:26]
	v_add_f64 v[4:5], v[4:5], v[21:22]
	s_andn2_b64 exec, exec, s[18:19]
	s_cbranch_execnz .LBB30_10
; %bb.11:                               ;   in Loop: Header=BB30_8 Depth=1
	s_or_b64 exec, exec, s[18:19]
.LBB30_12:                              ;   in Loop: Header=BB30_8 Depth=1
	s_or_b64 exec, exec, s[10:11]
	s_and_b64 vcc, exec, s[12:13]
	s_cbranch_vccz .LBB30_17
; %bb.13:                               ;   in Loop: Header=BB30_8 Depth=1
	v_cmp_ne_u32_e32 vcc, 63, v19
	v_addc_co_u32_e32 v10, vcc, 0, v18, vcc
	v_lshlrev_b32_e32 v13, 2, v10
	ds_bpermute_b32 v10, v13, v2
	ds_bpermute_b32 v11, v13, v3
	;; [unrolled: 1-line block ×4, first 2 shown]
	v_cmp_gt_u32_e32 vcc, 62, v19
	v_cndmask_b32_e64 v21, 0, 2, vcc
	s_waitcnt lgkmcnt(0)
	v_add_f64 v[10:11], v[2:3], v[10:11]
	v_add_lshl_u32 v24, v21, v18, 2
	s_waitcnt lgkmcnt(0)
	v_add_f64 v[12:13], v[4:5], v[12:13]
	v_cmp_gt_u32_e32 vcc, 60, v19
	ds_bpermute_b32 v21, v24, v10
	ds_bpermute_b32 v22, v24, v11
	ds_bpermute_b32 v23, v24, v12
	ds_bpermute_b32 v24, v24, v13
	s_waitcnt lgkmcnt(0)
	v_add_f64 v[10:11], v[10:11], v[21:22]
	v_cndmask_b32_e64 v21, 0, 4, vcc
	s_waitcnt lgkmcnt(0)
	v_add_f64 v[12:13], v[12:13], v[23:24]
	v_add_lshl_u32 v24, v21, v18, 2
	v_cmp_gt_u32_e32 vcc, 56, v19
	ds_bpermute_b32 v21, v24, v10
	ds_bpermute_b32 v22, v24, v11
	ds_bpermute_b32 v23, v24, v12
	ds_bpermute_b32 v24, v24, v13
	s_waitcnt lgkmcnt(0)
	v_add_f64 v[10:11], v[10:11], v[21:22]
	v_cndmask_b32_e64 v21, 0, 8, vcc
	s_waitcnt lgkmcnt(0)
	v_add_f64 v[12:13], v[12:13], v[23:24]
	v_add_lshl_u32 v24, v21, v18, 2
	;; [unrolled: 11-line block ×3, first 2 shown]
	ds_bpermute_b32 v21, v24, v10
	ds_bpermute_b32 v22, v24, v11
	;; [unrolled: 1-line block ×4, first 2 shown]
	s_waitcnt lgkmcnt(0)
	v_add_f64 v[10:11], v[10:11], v[21:22]
	s_waitcnt lgkmcnt(0)
	v_add_f64 v[12:13], v[12:13], v[23:24]
	ds_bpermute_b32 v21, v20, v10
	ds_bpermute_b32 v22, v20, v11
	;; [unrolled: 1-line block ×4, first 2 shown]
	s_waitcnt lgkmcnt(0)
	v_add_f64 v[10:11], v[10:11], v[21:22]
	s_waitcnt lgkmcnt(0)
	v_add_f64 v[12:13], v[12:13], v[23:24]
	s_and_saveexec_b64 s[4:5], s[14:15]
; %bb.14:                               ;   in Loop: Header=BB30_8 Depth=1
	ds_write2_b64 v16, v[10:11], v[12:13] offset1:1
; %bb.15:                               ;   in Loop: Header=BB30_8 Depth=1
	s_or_b64 exec, exec, s[4:5]
	s_waitcnt lgkmcnt(0)
	; wave barrier
	s_mov_b64 s[4:5], s[14:15]
.LBB30_16:                              ;   in Loop: Header=BB30_8 Depth=1
	v_mov_b32_e32 v4, v12
	v_mov_b32_e32 v2, v10
	;; [unrolled: 1-line block ×4, first 2 shown]
	s_and_saveexec_b64 s[10:11], s[4:5]
	s_cbranch_execnz .LBB30_19
	s_branch .LBB30_20
.LBB30_17:                              ;   in Loop: Header=BB30_8 Depth=1
	s_mov_b64 s[4:5], 0
                                        ; implicit-def: $vgpr12_vgpr13
                                        ; implicit-def: $vgpr10_vgpr11
	s_cbranch_execz .LBB30_16
; %bb.18:                               ;   in Loop: Header=BB30_8 Depth=1
	s_andn2_b64 s[4:5], s[4:5], exec
	s_and_b64 s[10:11], s[14:15], exec
	s_or_b64 s[4:5], s[4:5], s[10:11]
	s_and_saveexec_b64 s[10:11], s[4:5]
.LBB30_19:                              ;   in Loop: Header=BB30_8 Depth=1
	ds_write_b128 v15, v[2:5] offset:32768
.LBB30_20:                              ;   in Loop: Header=BB30_8 Depth=1
	s_or_b64 exec, exec, s[10:11]
	s_waitcnt lgkmcnt(0)
	; wave barrier
	s_and_saveexec_b64 s[4:5], s[0:1]
	s_cbranch_execz .LBB30_7
; %bb.21:                               ;   in Loop: Header=BB30_8 Depth=1
	global_load_dwordx4 v[10:13], v15, s[6:7]
	ds_read_b128 v[2:5], v15 offset:32768
	s_mov_b64 s[10:11], 0
	s_waitcnt vmcnt(0) lgkmcnt(0)
	v_mul_f64 v[21:22], v[12:13], v[4:5]
	v_mul_f64 v[12:13], v[12:13], v[2:3]
	v_fma_f64 v[2:3], v[2:3], -v[10:11], -v[21:22]
	v_fma_f64 v[4:5], v[10:11], v[4:5], -v[12:13]
	v_mov_b32_e32 v11, v7
	v_mov_b32_e32 v13, v1
	;; [unrolled: 1-line block ×5, first 2 shown]
.LBB30_22:                              ;   Parent Loop BB30_8 Depth=1
                                        ; =>  This Inner Loop Header: Depth=2
	flat_load_dwordx4 v[22:25], v[10:11]
	ds_read_b128 v[26:29], v21
	v_add_co_u32_e32 v12, vcc, 64, v12
	v_addc_co_u32_e32 v13, vcc, 0, v13, vcc
	s_waitcnt lgkmcnt(0)
	v_mul_f64 v[30:31], v[4:5], v[28:29]
	v_mul_f64 v[28:29], v[2:3], v[28:29]
	v_cmp_le_i64_e32 vcc, s[8:9], v[12:13]
	v_add_u32_e32 v21, 0x400, v21
	s_or_b64 s[10:11], vcc, s[10:11]
	v_fma_f64 v[30:31], v[2:3], v[26:27], -v[30:31]
	v_fma_f64 v[26:27], v[4:5], v[26:27], v[28:29]
	s_waitcnt vmcnt(0)
	v_add_f64 v[22:23], v[22:23], v[30:31]
	v_add_f64 v[24:25], v[26:27], v[24:25]
	flat_store_dwordx4 v[10:11], v[22:25]
	v_add_co_u32_e32 v10, vcc, 0x400, v10
	v_addc_co_u32_e32 v11, vcc, 0, v11, vcc
	s_andn2_b64 exec, exec, s[10:11]
	s_cbranch_execnz .LBB30_22
	s_branch .LBB30_7
.LBB30_23:
	s_endpgm
	.section	.rodata,"a",@progbits
	.p2align	6, 0x0
	.amdhsa_kernel _ZN9rocsolver6v33100L22larf_left_kernel_smallILi64E19rocblas_complex_numIdElPKPS3_EEvT1_S7_T2_lS7_lPKT0_lS8_lS7_l
		.amdhsa_group_segment_fixed_size 33792
		.amdhsa_private_segment_fixed_size 0
		.amdhsa_kernarg_size 96
		.amdhsa_user_sgpr_count 6
		.amdhsa_user_sgpr_private_segment_buffer 1
		.amdhsa_user_sgpr_dispatch_ptr 0
		.amdhsa_user_sgpr_queue_ptr 0
		.amdhsa_user_sgpr_kernarg_segment_ptr 1
		.amdhsa_user_sgpr_dispatch_id 0
		.amdhsa_user_sgpr_flat_scratch_init 0
		.amdhsa_user_sgpr_private_segment_size 0
		.amdhsa_uses_dynamic_stack 0
		.amdhsa_system_sgpr_private_segment_wavefront_offset 0
		.amdhsa_system_sgpr_workgroup_id_x 1
		.amdhsa_system_sgpr_workgroup_id_y 1
		.amdhsa_system_sgpr_workgroup_id_z 0
		.amdhsa_system_sgpr_workgroup_info 0
		.amdhsa_system_vgpr_workitem_id 0
		.amdhsa_next_free_vgpr 129
		.amdhsa_next_free_sgpr 98
		.amdhsa_reserve_vcc 1
		.amdhsa_reserve_flat_scratch 0
		.amdhsa_float_round_mode_32 0
		.amdhsa_float_round_mode_16_64 0
		.amdhsa_float_denorm_mode_32 3
		.amdhsa_float_denorm_mode_16_64 3
		.amdhsa_dx10_clamp 1
		.amdhsa_ieee_mode 1
		.amdhsa_fp16_overflow 0
		.amdhsa_exception_fp_ieee_invalid_op 0
		.amdhsa_exception_fp_denorm_src 0
		.amdhsa_exception_fp_ieee_div_zero 0
		.amdhsa_exception_fp_ieee_overflow 0
		.amdhsa_exception_fp_ieee_underflow 0
		.amdhsa_exception_fp_ieee_inexact 0
		.amdhsa_exception_int_div_zero 0
	.end_amdhsa_kernel
	.section	.text._ZN9rocsolver6v33100L22larf_left_kernel_smallILi64E19rocblas_complex_numIdElPKPS3_EEvT1_S7_T2_lS7_lPKT0_lS8_lS7_l,"axG",@progbits,_ZN9rocsolver6v33100L22larf_left_kernel_smallILi64E19rocblas_complex_numIdElPKPS3_EEvT1_S7_T2_lS7_lPKT0_lS8_lS7_l,comdat
.Lfunc_end30:
	.size	_ZN9rocsolver6v33100L22larf_left_kernel_smallILi64E19rocblas_complex_numIdElPKPS3_EEvT1_S7_T2_lS7_lPKT0_lS8_lS7_l, .Lfunc_end30-_ZN9rocsolver6v33100L22larf_left_kernel_smallILi64E19rocblas_complex_numIdElPKPS3_EEvT1_S7_T2_lS7_lPKT0_lS8_lS7_l
                                        ; -- End function
	.set _ZN9rocsolver6v33100L22larf_left_kernel_smallILi64E19rocblas_complex_numIdElPKPS3_EEvT1_S7_T2_lS7_lPKT0_lS8_lS7_l.num_vgpr, 32
	.set _ZN9rocsolver6v33100L22larf_left_kernel_smallILi64E19rocblas_complex_numIdElPKPS3_EEvT1_S7_T2_lS7_lPKT0_lS8_lS7_l.num_agpr, 0
	.set _ZN9rocsolver6v33100L22larf_left_kernel_smallILi64E19rocblas_complex_numIdElPKPS3_EEvT1_S7_T2_lS7_lPKT0_lS8_lS7_l.numbered_sgpr, 32
	.set _ZN9rocsolver6v33100L22larf_left_kernel_smallILi64E19rocblas_complex_numIdElPKPS3_EEvT1_S7_T2_lS7_lPKT0_lS8_lS7_l.num_named_barrier, 0
	.set _ZN9rocsolver6v33100L22larf_left_kernel_smallILi64E19rocblas_complex_numIdElPKPS3_EEvT1_S7_T2_lS7_lPKT0_lS8_lS7_l.private_seg_size, 0
	.set _ZN9rocsolver6v33100L22larf_left_kernel_smallILi64E19rocblas_complex_numIdElPKPS3_EEvT1_S7_T2_lS7_lPKT0_lS8_lS7_l.uses_vcc, 1
	.set _ZN9rocsolver6v33100L22larf_left_kernel_smallILi64E19rocblas_complex_numIdElPKPS3_EEvT1_S7_T2_lS7_lPKT0_lS8_lS7_l.uses_flat_scratch, 0
	.set _ZN9rocsolver6v33100L22larf_left_kernel_smallILi64E19rocblas_complex_numIdElPKPS3_EEvT1_S7_T2_lS7_lPKT0_lS8_lS7_l.has_dyn_sized_stack, 0
	.set _ZN9rocsolver6v33100L22larf_left_kernel_smallILi64E19rocblas_complex_numIdElPKPS3_EEvT1_S7_T2_lS7_lPKT0_lS8_lS7_l.has_recursion, 0
	.set _ZN9rocsolver6v33100L22larf_left_kernel_smallILi64E19rocblas_complex_numIdElPKPS3_EEvT1_S7_T2_lS7_lPKT0_lS8_lS7_l.has_indirect_call, 0
	.section	.AMDGPU.csdata,"",@progbits
; Kernel info:
; codeLenInByte = 1472
; TotalNumSgprs: 36
; NumVgprs: 32
; ScratchSize: 0
; MemoryBound: 0
; FloatMode: 240
; IeeeMode: 1
; LDSByteSize: 33792 bytes/workgroup (compile time only)
; SGPRBlocks: 12
; VGPRBlocks: 32
; NumSGPRsForWavesPerEU: 102
; NumVGPRsForWavesPerEU: 129
; Occupancy: 1
; WaveLimiterHint : 0
; COMPUTE_PGM_RSRC2:SCRATCH_EN: 0
; COMPUTE_PGM_RSRC2:USER_SGPR: 6
; COMPUTE_PGM_RSRC2:TRAP_HANDLER: 0
; COMPUTE_PGM_RSRC2:TGID_X_EN: 1
; COMPUTE_PGM_RSRC2:TGID_Y_EN: 1
; COMPUTE_PGM_RSRC2:TGID_Z_EN: 0
; COMPUTE_PGM_RSRC2:TIDIG_COMP_CNT: 0
	.section	.text._ZN9rocsolver6v33100L22larf_left_kernel_smallILi128E19rocblas_complex_numIdElPKPS3_EEvT1_S7_T2_lS7_lPKT0_lS8_lS7_l,"axG",@progbits,_ZN9rocsolver6v33100L22larf_left_kernel_smallILi128E19rocblas_complex_numIdElPKPS3_EEvT1_S7_T2_lS7_lPKT0_lS8_lS7_l,comdat
	.globl	_ZN9rocsolver6v33100L22larf_left_kernel_smallILi128E19rocblas_complex_numIdElPKPS3_EEvT1_S7_T2_lS7_lPKT0_lS8_lS7_l ; -- Begin function _ZN9rocsolver6v33100L22larf_left_kernel_smallILi128E19rocblas_complex_numIdElPKPS3_EEvT1_S7_T2_lS7_lPKT0_lS8_lS7_l
	.p2align	8
	.type	_ZN9rocsolver6v33100L22larf_left_kernel_smallILi128E19rocblas_complex_numIdElPKPS3_EEvT1_S7_T2_lS7_lPKT0_lS8_lS7_l,@function
_ZN9rocsolver6v33100L22larf_left_kernel_smallILi128E19rocblas_complex_numIdElPKPS3_EEvT1_S7_T2_lS7_lPKT0_lS8_lS7_l: ; @_ZN9rocsolver6v33100L22larf_left_kernel_smallILi128E19rocblas_complex_numIdElPKPS3_EEvT1_S7_T2_lS7_lPKT0_lS8_lS7_l
; %bb.0:
	s_mov_b32 s10, s7
	s_load_dwordx8 s[12:19], s[4:5], 0x0
	s_load_dwordx2 s[2:3], s[4:5], 0x20
	s_load_dwordx8 s[20:27], s[4:5], 0x30
	s_load_dwordx2 s[8:9], s[4:5], 0x50
	s_mov_b32 s7, 0
	s_lshl_b64 s[0:1], s[6:7], 3
	s_waitcnt lgkmcnt(0)
	s_add_u32 s16, s16, s0
	s_addc_u32 s17, s17, s1
	v_cmp_gt_i64_e64 s[4:5], s[2:3], 0
	s_add_u32 s0, s24, s0
	s_addc_u32 s1, s25, s1
	s_mov_b64 s[28:29], 0
	s_and_b64 vcc, exec, s[4:5]
	s_cbranch_vccnz .LBB31_2
; %bb.1:
	s_sub_u32 s4, 1, s12
	s_subb_u32 s5, 0, s13
	s_mul_i32 s5, s2, s5
	s_mul_hi_u32 s7, s2, s4
	s_add_i32 s5, s7, s5
	s_mul_i32 s7, s3, s4
	s_add_i32 s29, s5, s7
	s_mul_i32 s28, s2, s4
.LBB31_2:
	s_load_dwordx2 s[24:25], s[0:1], 0x0
	v_mov_b32_e32 v1, 0
	v_cmp_gt_i64_e64 s[0:1], s[12:13], v[0:1]
	v_lshlrev_b32_e32 v18, 4, v0
	s_and_saveexec_b64 s[4:5], s[0:1]
	s_cbranch_execz .LBB31_5
; %bb.3:
	v_mad_u64_u32 v[2:3], s[30:31], s2, v0, 0
	s_load_dwordx2 s[16:17], s[16:17], 0x0
	s_lshl_b64 s[28:29], s[28:29], 4
	v_mad_u64_u32 v[3:4], s[30:31], s3, v0, v[3:4]
	s_lshl_b64 s[18:19], s[18:19], 4
	s_waitcnt lgkmcnt(0)
	s_add_u32 s7, s16, s18
	s_addc_u32 s11, s17, s19
	v_lshlrev_b64 v[2:3], 4, v[2:3]
	s_add_u32 s7, s7, s28
	s_addc_u32 s11, s11, s29
	v_mov_b32_e32 v4, s11
	v_add_co_u32_e32 v2, vcc, s7, v2
	v_addc_co_u32_e32 v3, vcc, v4, v3, vcc
	s_lshl_b64 s[16:17], s[2:3], 11
	v_mov_b32_e32 v5, v1
	v_lshlrev_b32_e32 v6, 4, v0
	s_mov_b64 s[18:19], 0
	v_mov_b32_e32 v7, s17
	v_mov_b32_e32 v4, v0
.LBB31_4:                               ; =>This Inner Loop Header: Depth=1
	flat_load_dwordx4 v[8:11], v[2:3]
	v_add_co_u32_e32 v4, vcc, 0x80, v4
	v_addc_co_u32_e32 v5, vcc, 0, v5, vcc
	v_cmp_le_i64_e32 vcc, s[12:13], v[4:5]
	v_add_co_u32_e64 v2, s[2:3], s16, v2
	v_addc_co_u32_e64 v3, s[2:3], v3, v7, s[2:3]
	s_or_b64 s[18:19], vcc, s[18:19]
	s_waitcnt vmcnt(0) lgkmcnt(0)
	ds_write2_b64 v6, v[8:9], v[10:11] offset1:1
	v_add_u32_e32 v6, 0x800, v6
	s_andn2_b64 exec, exec, s[18:19]
	s_cbranch_execnz .LBB31_4
.LBB31_5:
	s_or_b64 exec, exec, s[4:5]
	s_mov_b32 s11, 0
	v_mov_b32_e32 v2, s10
	v_mov_b32_e32 v3, s11
	v_cmp_le_i64_e32 vcc, s[14:15], v[2:3]
	s_waitcnt lgkmcnt(0)
	s_barrier
	s_cbranch_vccnz .LBB31_25
; %bb.6:
	s_mul_i32 s2, s23, s6
	s_mul_hi_u32 s3, s22, s6
	s_add_i32 s3, s3, s2
	s_mul_i32 s2, s22, s6
	s_lshl_b64 s[2:3], s[2:3], 4
	s_add_u32 s16, s20, s2
	s_addc_u32 s17, s21, s3
	s_cmp_gt_i32 s12, 1
	s_mul_i32 s20, s9, s10
	s_mul_hi_u32 s21, s8, s10
	s_cselect_b64 s[18:19], -1, 0
	s_add_i32 s21, s21, s20
	s_mul_i32 s20, s8, s10
	s_lshl_b64 s[20:21], s[20:21], 4
	s_lshl_b64 s[22:23], s[26:27], 4
	s_add_u32 s20, s20, s22
	v_and_b32_e32 v2, 63, v0
	s_addc_u32 s21, s21, s23
	v_cmp_eq_u32_e64 s[4:5], 0, v2
	v_lshrrev_b32_e32 v2, 2, v0
	s_add_u32 s20, s24, s20
	v_lshlrev_b32_e32 v3, 4, v0
	s_addc_u32 s21, s25, s21
	v_or_b32_e32 v20, 0x8000, v2
	v_mbcnt_lo_u32_b32 v2, -1, 0
	v_mov_b32_e32 v4, s21
	v_add_co_u32_e32 v6, vcc, s20, v3
	s_lshl_b64 s[20:21], s[8:9], 10
	v_mov_b32_e32 v8, s14
	v_mbcnt_hi_u32_b32 v22, -1, v2
	v_mov_b32_e32 v2, 0x80
	v_cmp_gt_i32_e64 s[2:3], s12, v0
	v_cmp_eq_u32_e64 s[6:7], 0, v0
	v_mov_b32_e32 v19, 0
	v_addc_co_u32_e32 v7, vcc, 0, v4, vcc
	s_movk_i32 s24, 0x80
	v_mov_b32_e32 v21, s21
	v_mov_b32_e32 v9, s15
	v_and_b32_e32 v23, 63, v22
	v_lshl_or_b32 v24, v22, 2, v2
	s_branch .LBB31_8
.LBB31_7:                               ;   in Loop: Header=BB31_8 Depth=1
	s_or_b64 exec, exec, s[8:9]
	s_add_u32 s10, s10, 64
	s_addc_u32 s11, s11, 0
	v_cmp_ge_i64_e32 vcc, s[10:11], v[8:9]
	v_add_co_u32_e64 v6, s[8:9], s20, v6
	v_addc_co_u32_e64 v7, s[8:9], v7, v21, s[8:9]
	s_cbranch_vccnz .LBB31_25
.LBB31_8:                               ; =>This Loop Header: Depth=1
                                        ;     Child Loop BB31_10 Depth 2
                                        ;     Child Loop BB31_24 Depth 2
	v_mov_b32_e32 v4, 0
	v_mov_b32_e32 v2, 0
	;; [unrolled: 1-line block ×4, first 2 shown]
	s_and_saveexec_b64 s[14:15], s[2:3]
	s_cbranch_execz .LBB31_12
; %bb.9:                                ;   in Loop: Header=BB31_8 Depth=1
	v_mov_b32_e32 v4, 0
	v_mov_b32_e32 v11, v7
	;; [unrolled: 1-line block ×4, first 2 shown]
	s_mov_b64 s[22:23], 0
	v_mov_b32_e32 v10, v6
	v_mov_b32_e32 v12, v18
	;; [unrolled: 1-line block ×4, first 2 shown]
.LBB31_10:                              ;   Parent Loop BB31_8 Depth=1
                                        ; =>  This Inner Loop Header: Depth=2
	flat_load_dwordx4 v[14:17], v[10:11]
	ds_read_b128 v[25:28], v12
	v_add_u32_e32 v13, 0x80, v13
	v_add_co_u32_e32 v10, vcc, 0x800, v10
	v_cmp_le_i32_e64 s[8:9], s12, v13
	v_add_u32_e32 v12, 0x800, v12
	s_or_b64 s[22:23], s[8:9], s[22:23]
	v_addc_co_u32_e32 v11, vcc, 0, v11, vcc
	s_waitcnt vmcnt(0) lgkmcnt(0)
	v_mul_f64 v[29:30], v[16:17], v[27:28]
	v_mul_f64 v[16:17], v[16:17], v[25:26]
	v_fma_f64 v[25:26], v[14:15], v[25:26], v[29:30]
	v_fma_f64 v[14:15], v[14:15], v[27:28], -v[16:17]
	v_add_f64 v[2:3], v[2:3], v[25:26]
	v_add_f64 v[4:5], v[4:5], v[14:15]
	s_andn2_b64 exec, exec, s[22:23]
	s_cbranch_execnz .LBB31_10
; %bb.11:                               ;   in Loop: Header=BB31_8 Depth=1
	s_or_b64 exec, exec, s[22:23]
.LBB31_12:                              ;   in Loop: Header=BB31_8 Depth=1
	s_or_b64 exec, exec, s[14:15]
	s_and_b64 vcc, exec, s[18:19]
	s_cbranch_vccz .LBB31_19
; %bb.13:                               ;   in Loop: Header=BB31_8 Depth=1
	v_cmp_ne_u32_e32 vcc, 63, v23
	v_addc_co_u32_e32 v10, vcc, 0, v22, vcc
	v_lshlrev_b32_e32 v13, 2, v10
	ds_bpermute_b32 v10, v13, v2
	ds_bpermute_b32 v11, v13, v3
	;; [unrolled: 1-line block ×4, first 2 shown]
	v_cmp_gt_u32_e32 vcc, 62, v23
	v_cndmask_b32_e64 v14, 0, 2, vcc
	s_waitcnt lgkmcnt(0)
	v_add_f64 v[10:11], v[2:3], v[10:11]
	v_add_lshl_u32 v17, v14, v22, 2
	s_waitcnt lgkmcnt(0)
	v_add_f64 v[12:13], v[4:5], v[12:13]
	v_cmp_gt_u32_e32 vcc, 60, v23
	ds_bpermute_b32 v14, v17, v10
	ds_bpermute_b32 v15, v17, v11
	ds_bpermute_b32 v16, v17, v12
	ds_bpermute_b32 v17, v17, v13
	s_waitcnt lgkmcnt(0)
	v_add_f64 v[10:11], v[10:11], v[14:15]
	v_cndmask_b32_e64 v14, 0, 4, vcc
	s_waitcnt lgkmcnt(0)
	v_add_f64 v[12:13], v[12:13], v[16:17]
	v_add_lshl_u32 v17, v14, v22, 2
	v_cmp_gt_u32_e32 vcc, 56, v23
	ds_bpermute_b32 v14, v17, v10
	ds_bpermute_b32 v15, v17, v11
	ds_bpermute_b32 v16, v17, v12
	ds_bpermute_b32 v17, v17, v13
	s_waitcnt lgkmcnt(0)
	v_add_f64 v[10:11], v[10:11], v[14:15]
	v_cndmask_b32_e64 v14, 0, 8, vcc
	s_waitcnt lgkmcnt(0)
	v_add_f64 v[12:13], v[12:13], v[16:17]
	v_add_lshl_u32 v17, v14, v22, 2
	;; [unrolled: 11-line block ×3, first 2 shown]
	ds_bpermute_b32 v14, v17, v10
	ds_bpermute_b32 v15, v17, v11
	;; [unrolled: 1-line block ×4, first 2 shown]
	s_waitcnt lgkmcnt(0)
	v_add_f64 v[10:11], v[10:11], v[14:15]
	s_waitcnt lgkmcnt(0)
	v_add_f64 v[14:15], v[12:13], v[16:17]
	ds_bpermute_b32 v12, v24, v10
	ds_bpermute_b32 v13, v24, v11
	;; [unrolled: 1-line block ×4, first 2 shown]
	s_waitcnt lgkmcnt(0)
	v_add_f64 v[12:13], v[10:11], v[12:13]
	s_waitcnt lgkmcnt(0)
	v_add_f64 v[16:17], v[14:15], v[16:17]
	s_and_saveexec_b64 s[8:9], s[4:5]
; %bb.14:                               ;   in Loop: Header=BB31_8 Depth=1
	ds_write2_b64 v20, v[12:13], v[16:17] offset1:1
; %bb.15:                               ;   in Loop: Header=BB31_8 Depth=1
	s_or_b64 exec, exec, s[8:9]
	s_mov_b64 s[14:15], 0
	s_mov_b64 s[8:9], 0
	s_waitcnt vmcnt(0) lgkmcnt(0)
	s_barrier
                                        ; implicit-def: $vgpr10_vgpr11
                                        ; implicit-def: $vgpr14_vgpr15
	s_and_saveexec_b64 s[22:23], s[6:7]
	s_xor_b64 s[22:23], exec, s[22:23]
	s_cbranch_execz .LBB31_17
; %bb.16:                               ;   in Loop: Header=BB31_8 Depth=1
	ds_read_b128 v[25:28], v19 offset:32784
	s_mov_b64 s[8:9], exec
	s_waitcnt lgkmcnt(0)
	v_add_f64 v[10:11], v[16:17], v[27:28]
	v_add_f64 v[14:15], v[12:13], v[25:26]
.LBB31_17:                              ;   in Loop: Header=BB31_8 Depth=1
	s_or_b64 exec, exec, s[22:23]
	s_and_b64 vcc, exec, s[14:15]
	s_cbranch_vccnz .LBB31_20
.LBB31_18:                              ;   in Loop: Header=BB31_8 Depth=1
	v_mov_b32_e32 v4, v10
	v_mov_b32_e32 v2, v14
	;; [unrolled: 1-line block ×4, first 2 shown]
	s_and_saveexec_b64 s[14:15], s[8:9]
	s_cbranch_execnz .LBB31_21
	s_branch .LBB31_22
.LBB31_19:                              ;   in Loop: Header=BB31_8 Depth=1
	s_mov_b64 s[8:9], 0
                                        ; implicit-def: $vgpr10_vgpr11
                                        ; implicit-def: $vgpr14_vgpr15
	s_cbranch_execz .LBB31_18
.LBB31_20:                              ;   in Loop: Header=BB31_8 Depth=1
	s_andn2_b64 s[8:9], s[8:9], exec
	s_and_b64 s[14:15], s[6:7], exec
	s_or_b64 s[8:9], s[8:9], s[14:15]
	s_and_saveexec_b64 s[14:15], s[8:9]
.LBB31_21:                              ;   in Loop: Header=BB31_8 Depth=1
	ds_write_b128 v19, v[2:5] offset:32768
.LBB31_22:                              ;   in Loop: Header=BB31_8 Depth=1
	s_or_b64 exec, exec, s[14:15]
	s_waitcnt vmcnt(0) lgkmcnt(0)
	s_barrier
	s_and_saveexec_b64 s[8:9], s[0:1]
	s_cbranch_execz .LBB31_7
; %bb.23:                               ;   in Loop: Header=BB31_8 Depth=1
	global_load_dwordx4 v[10:13], v19, s[16:17]
	ds_read_b128 v[2:5], v19 offset:32768
	s_mov_b64 s[14:15], 0
	s_waitcnt vmcnt(0) lgkmcnt(0)
	v_mul_f64 v[14:15], v[12:13], v[4:5]
	v_mul_f64 v[12:13], v[12:13], v[2:3]
	v_fma_f64 v[2:3], v[2:3], -v[10:11], -v[14:15]
	v_fma_f64 v[4:5], v[10:11], v[4:5], -v[12:13]
	v_mov_b32_e32 v11, v7
	v_mov_b32_e32 v13, v1
	;; [unrolled: 1-line block ×5, first 2 shown]
.LBB31_24:                              ;   Parent Loop BB31_8 Depth=1
                                        ; =>  This Inner Loop Header: Depth=2
	flat_load_dwordx4 v[25:28], v[10:11]
	ds_read_b128 v[29:32], v14
	v_add_co_u32_e32 v12, vcc, s24, v12
	v_addc_co_u32_e32 v13, vcc, 0, v13, vcc
	s_waitcnt lgkmcnt(0)
	v_mul_f64 v[15:16], v[4:5], v[31:32]
	v_mul_f64 v[31:32], v[2:3], v[31:32]
	v_cmp_le_i64_e32 vcc, s[12:13], v[12:13]
	v_add_u32_e32 v14, 0x800, v14
	s_or_b64 s[14:15], vcc, s[14:15]
	v_fma_f64 v[15:16], v[2:3], v[29:30], -v[15:16]
	v_fma_f64 v[29:30], v[4:5], v[29:30], v[31:32]
	s_waitcnt vmcnt(0)
	v_add_f64 v[25:26], v[25:26], v[15:16]
	v_add_f64 v[27:28], v[29:30], v[27:28]
	flat_store_dwordx4 v[10:11], v[25:28]
	v_add_co_u32_e32 v10, vcc, 0x800, v10
	v_addc_co_u32_e32 v11, vcc, 0, v11, vcc
	s_andn2_b64 exec, exec, s[14:15]
	s_cbranch_execnz .LBB31_24
	s_branch .LBB31_7
.LBB31_25:
	s_endpgm
	.section	.rodata,"a",@progbits
	.p2align	6, 0x0
	.amdhsa_kernel _ZN9rocsolver6v33100L22larf_left_kernel_smallILi128E19rocblas_complex_numIdElPKPS3_EEvT1_S7_T2_lS7_lPKT0_lS8_lS7_l
		.amdhsa_group_segment_fixed_size 34816
		.amdhsa_private_segment_fixed_size 0
		.amdhsa_kernarg_size 96
		.amdhsa_user_sgpr_count 6
		.amdhsa_user_sgpr_private_segment_buffer 1
		.amdhsa_user_sgpr_dispatch_ptr 0
		.amdhsa_user_sgpr_queue_ptr 0
		.amdhsa_user_sgpr_kernarg_segment_ptr 1
		.amdhsa_user_sgpr_dispatch_id 0
		.amdhsa_user_sgpr_flat_scratch_init 0
		.amdhsa_user_sgpr_private_segment_size 0
		.amdhsa_uses_dynamic_stack 0
		.amdhsa_system_sgpr_private_segment_wavefront_offset 0
		.amdhsa_system_sgpr_workgroup_id_x 1
		.amdhsa_system_sgpr_workgroup_id_y 1
		.amdhsa_system_sgpr_workgroup_id_z 0
		.amdhsa_system_sgpr_workgroup_info 0
		.amdhsa_system_vgpr_workitem_id 0
		.amdhsa_next_free_vgpr 129
		.amdhsa_next_free_sgpr 98
		.amdhsa_reserve_vcc 1
		.amdhsa_reserve_flat_scratch 0
		.amdhsa_float_round_mode_32 0
		.amdhsa_float_round_mode_16_64 0
		.amdhsa_float_denorm_mode_32 3
		.amdhsa_float_denorm_mode_16_64 3
		.amdhsa_dx10_clamp 1
		.amdhsa_ieee_mode 1
		.amdhsa_fp16_overflow 0
		.amdhsa_exception_fp_ieee_invalid_op 0
		.amdhsa_exception_fp_denorm_src 0
		.amdhsa_exception_fp_ieee_div_zero 0
		.amdhsa_exception_fp_ieee_overflow 0
		.amdhsa_exception_fp_ieee_underflow 0
		.amdhsa_exception_fp_ieee_inexact 0
		.amdhsa_exception_int_div_zero 0
	.end_amdhsa_kernel
	.section	.text._ZN9rocsolver6v33100L22larf_left_kernel_smallILi128E19rocblas_complex_numIdElPKPS3_EEvT1_S7_T2_lS7_lPKT0_lS8_lS7_l,"axG",@progbits,_ZN9rocsolver6v33100L22larf_left_kernel_smallILi128E19rocblas_complex_numIdElPKPS3_EEvT1_S7_T2_lS7_lPKT0_lS8_lS7_l,comdat
.Lfunc_end31:
	.size	_ZN9rocsolver6v33100L22larf_left_kernel_smallILi128E19rocblas_complex_numIdElPKPS3_EEvT1_S7_T2_lS7_lPKT0_lS8_lS7_l, .Lfunc_end31-_ZN9rocsolver6v33100L22larf_left_kernel_smallILi128E19rocblas_complex_numIdElPKPS3_EEvT1_S7_T2_lS7_lPKT0_lS8_lS7_l
                                        ; -- End function
	.set _ZN9rocsolver6v33100L22larf_left_kernel_smallILi128E19rocblas_complex_numIdElPKPS3_EEvT1_S7_T2_lS7_lPKT0_lS8_lS7_l.num_vgpr, 33
	.set _ZN9rocsolver6v33100L22larf_left_kernel_smallILi128E19rocblas_complex_numIdElPKPS3_EEvT1_S7_T2_lS7_lPKT0_lS8_lS7_l.num_agpr, 0
	.set _ZN9rocsolver6v33100L22larf_left_kernel_smallILi128E19rocblas_complex_numIdElPKPS3_EEvT1_S7_T2_lS7_lPKT0_lS8_lS7_l.numbered_sgpr, 32
	.set _ZN9rocsolver6v33100L22larf_left_kernel_smallILi128E19rocblas_complex_numIdElPKPS3_EEvT1_S7_T2_lS7_lPKT0_lS8_lS7_l.num_named_barrier, 0
	.set _ZN9rocsolver6v33100L22larf_left_kernel_smallILi128E19rocblas_complex_numIdElPKPS3_EEvT1_S7_T2_lS7_lPKT0_lS8_lS7_l.private_seg_size, 0
	.set _ZN9rocsolver6v33100L22larf_left_kernel_smallILi128E19rocblas_complex_numIdElPKPS3_EEvT1_S7_T2_lS7_lPKT0_lS8_lS7_l.uses_vcc, 1
	.set _ZN9rocsolver6v33100L22larf_left_kernel_smallILi128E19rocblas_complex_numIdElPKPS3_EEvT1_S7_T2_lS7_lPKT0_lS8_lS7_l.uses_flat_scratch, 0
	.set _ZN9rocsolver6v33100L22larf_left_kernel_smallILi128E19rocblas_complex_numIdElPKPS3_EEvT1_S7_T2_lS7_lPKT0_lS8_lS7_l.has_dyn_sized_stack, 0
	.set _ZN9rocsolver6v33100L22larf_left_kernel_smallILi128E19rocblas_complex_numIdElPKPS3_EEvT1_S7_T2_lS7_lPKT0_lS8_lS7_l.has_recursion, 0
	.set _ZN9rocsolver6v33100L22larf_left_kernel_smallILi128E19rocblas_complex_numIdElPKPS3_EEvT1_S7_T2_lS7_lPKT0_lS8_lS7_l.has_indirect_call, 0
	.section	.AMDGPU.csdata,"",@progbits
; Kernel info:
; codeLenInByte = 1576
; TotalNumSgprs: 36
; NumVgprs: 33
; ScratchSize: 0
; MemoryBound: 0
; FloatMode: 240
; IeeeMode: 1
; LDSByteSize: 34816 bytes/workgroup (compile time only)
; SGPRBlocks: 12
; VGPRBlocks: 32
; NumSGPRsForWavesPerEU: 102
; NumVGPRsForWavesPerEU: 129
; Occupancy: 1
; WaveLimiterHint : 0
; COMPUTE_PGM_RSRC2:SCRATCH_EN: 0
; COMPUTE_PGM_RSRC2:USER_SGPR: 6
; COMPUTE_PGM_RSRC2:TRAP_HANDLER: 0
; COMPUTE_PGM_RSRC2:TGID_X_EN: 1
; COMPUTE_PGM_RSRC2:TGID_Y_EN: 1
; COMPUTE_PGM_RSRC2:TGID_Z_EN: 0
; COMPUTE_PGM_RSRC2:TIDIG_COMP_CNT: 0
	.section	.text._ZN9rocsolver6v33100L22larf_left_kernel_smallILi256E19rocblas_complex_numIdElPKPS3_EEvT1_S7_T2_lS7_lPKT0_lS8_lS7_l,"axG",@progbits,_ZN9rocsolver6v33100L22larf_left_kernel_smallILi256E19rocblas_complex_numIdElPKPS3_EEvT1_S7_T2_lS7_lPKT0_lS8_lS7_l,comdat
	.globl	_ZN9rocsolver6v33100L22larf_left_kernel_smallILi256E19rocblas_complex_numIdElPKPS3_EEvT1_S7_T2_lS7_lPKT0_lS8_lS7_l ; -- Begin function _ZN9rocsolver6v33100L22larf_left_kernel_smallILi256E19rocblas_complex_numIdElPKPS3_EEvT1_S7_T2_lS7_lPKT0_lS8_lS7_l
	.p2align	8
	.type	_ZN9rocsolver6v33100L22larf_left_kernel_smallILi256E19rocblas_complex_numIdElPKPS3_EEvT1_S7_T2_lS7_lPKT0_lS8_lS7_l,@function
_ZN9rocsolver6v33100L22larf_left_kernel_smallILi256E19rocblas_complex_numIdElPKPS3_EEvT1_S7_T2_lS7_lPKT0_lS8_lS7_l: ; @_ZN9rocsolver6v33100L22larf_left_kernel_smallILi256E19rocblas_complex_numIdElPKPS3_EEvT1_S7_T2_lS7_lPKT0_lS8_lS7_l
; %bb.0:
	s_mov_b32 s10, s7
	s_load_dwordx8 s[12:19], s[4:5], 0x0
	s_load_dwordx2 s[2:3], s[4:5], 0x20
	s_load_dwordx8 s[20:27], s[4:5], 0x30
	s_load_dwordx2 s[8:9], s[4:5], 0x50
	s_mov_b32 s7, 0
	s_lshl_b64 s[0:1], s[6:7], 3
	s_waitcnt lgkmcnt(0)
	s_add_u32 s16, s16, s0
	s_addc_u32 s17, s17, s1
	v_cmp_gt_i64_e64 s[4:5], s[2:3], 0
	s_add_u32 s0, s24, s0
	s_addc_u32 s1, s25, s1
	s_mov_b64 s[28:29], 0
	s_and_b64 vcc, exec, s[4:5]
	s_cbranch_vccnz .LBB32_2
; %bb.1:
	s_sub_u32 s4, 1, s12
	s_subb_u32 s5, 0, s13
	s_mul_i32 s5, s2, s5
	s_mul_hi_u32 s7, s2, s4
	s_add_i32 s5, s7, s5
	s_mul_i32 s7, s3, s4
	s_add_i32 s29, s5, s7
	s_mul_i32 s28, s2, s4
.LBB32_2:
	s_load_dwordx2 s[24:25], s[0:1], 0x0
	v_mov_b32_e32 v1, 0
	v_cmp_gt_i64_e64 s[0:1], s[12:13], v[0:1]
	v_lshlrev_b32_e32 v18, 4, v0
	s_and_saveexec_b64 s[4:5], s[0:1]
	s_cbranch_execz .LBB32_5
; %bb.3:
	v_mad_u64_u32 v[2:3], s[30:31], s2, v0, 0
	s_load_dwordx2 s[16:17], s[16:17], 0x0
	s_lshl_b64 s[28:29], s[28:29], 4
	v_mad_u64_u32 v[3:4], s[30:31], s3, v0, v[3:4]
	s_lshl_b64 s[18:19], s[18:19], 4
	s_waitcnt lgkmcnt(0)
	s_add_u32 s7, s16, s18
	s_addc_u32 s11, s17, s19
	v_lshlrev_b64 v[2:3], 4, v[2:3]
	s_add_u32 s7, s7, s28
	s_addc_u32 s11, s11, s29
	v_mov_b32_e32 v4, s11
	v_add_co_u32_e32 v2, vcc, s7, v2
	v_addc_co_u32_e32 v3, vcc, v4, v3, vcc
	s_lshl_b64 s[16:17], s[2:3], 12
	v_mov_b32_e32 v5, v1
	v_lshlrev_b32_e32 v6, 4, v0
	s_mov_b64 s[18:19], 0
	v_mov_b32_e32 v7, s17
	v_mov_b32_e32 v4, v0
.LBB32_4:                               ; =>This Inner Loop Header: Depth=1
	flat_load_dwordx4 v[8:11], v[2:3]
	v_add_co_u32_e32 v4, vcc, 0x100, v4
	v_addc_co_u32_e32 v5, vcc, 0, v5, vcc
	v_cmp_le_i64_e32 vcc, s[12:13], v[4:5]
	v_add_co_u32_e64 v2, s[2:3], s16, v2
	v_addc_co_u32_e64 v3, s[2:3], v3, v7, s[2:3]
	s_or_b64 s[18:19], vcc, s[18:19]
	s_waitcnt vmcnt(0) lgkmcnt(0)
	ds_write2_b64 v6, v[8:9], v[10:11] offset1:1
	v_add_u32_e32 v6, 0x1000, v6
	s_andn2_b64 exec, exec, s[18:19]
	s_cbranch_execnz .LBB32_4
.LBB32_5:
	s_or_b64 exec, exec, s[4:5]
	s_mov_b32 s11, 0
	v_mov_b32_e32 v2, s10
	v_mov_b32_e32 v3, s11
	v_cmp_le_i64_e32 vcc, s[14:15], v[2:3]
	s_waitcnt lgkmcnt(0)
	s_barrier
	s_cbranch_vccnz .LBB32_25
; %bb.6:
	s_mul_i32 s2, s23, s6
	s_mul_hi_u32 s3, s22, s6
	s_add_i32 s3, s3, s2
	s_mul_i32 s2, s22, s6
	s_lshl_b64 s[2:3], s[2:3], 4
	s_add_u32 s16, s20, s2
	s_addc_u32 s17, s21, s3
	s_cmp_gt_i32 s12, 1
	s_mul_i32 s20, s9, s10
	s_mul_hi_u32 s21, s8, s10
	s_cselect_b64 s[18:19], -1, 0
	s_add_i32 s21, s21, s20
	s_mul_i32 s20, s8, s10
	s_lshl_b64 s[20:21], s[20:21], 4
	s_lshl_b64 s[22:23], s[26:27], 4
	s_add_u32 s20, s20, s22
	v_and_b32_e32 v2, 63, v0
	s_addc_u32 s21, s21, s23
	v_cmp_eq_u32_e64 s[4:5], 0, v2
	v_lshrrev_b32_e32 v2, 2, v0
	s_add_u32 s20, s24, s20
	v_lshlrev_b32_e32 v3, 4, v0
	s_addc_u32 s21, s25, s21
	v_or_b32_e32 v20, 0x8000, v2
	v_mbcnt_lo_u32_b32 v2, -1, 0
	v_mov_b32_e32 v4, s21
	v_add_co_u32_e32 v6, vcc, s20, v3
	s_lshl_b64 s[20:21], s[8:9], 10
	v_mov_b32_e32 v8, s14
	v_mbcnt_hi_u32_b32 v22, -1, v2
	v_mov_b32_e32 v2, 0x80
	v_cmp_gt_i32_e64 s[2:3], s12, v0
	v_cmp_eq_u32_e64 s[6:7], 0, v0
	v_mov_b32_e32 v19, 0
	v_addc_co_u32_e32 v7, vcc, 0, v4, vcc
	s_movk_i32 s24, 0x100
	v_mov_b32_e32 v21, s21
	v_mov_b32_e32 v9, s15
	v_and_b32_e32 v23, 63, v22
	v_lshl_or_b32 v24, v22, 2, v2
	s_branch .LBB32_8
.LBB32_7:                               ;   in Loop: Header=BB32_8 Depth=1
	s_or_b64 exec, exec, s[8:9]
	s_add_u32 s10, s10, 64
	s_addc_u32 s11, s11, 0
	v_cmp_ge_i64_e32 vcc, s[10:11], v[8:9]
	v_add_co_u32_e64 v6, s[8:9], s20, v6
	v_addc_co_u32_e64 v7, s[8:9], v7, v21, s[8:9]
	s_cbranch_vccnz .LBB32_25
.LBB32_8:                               ; =>This Loop Header: Depth=1
                                        ;     Child Loop BB32_10 Depth 2
                                        ;     Child Loop BB32_24 Depth 2
	v_mov_b32_e32 v4, 0
	v_mov_b32_e32 v2, 0
	;; [unrolled: 1-line block ×4, first 2 shown]
	s_and_saveexec_b64 s[14:15], s[2:3]
	s_cbranch_execz .LBB32_12
; %bb.9:                                ;   in Loop: Header=BB32_8 Depth=1
	v_mov_b32_e32 v4, 0
	v_mov_b32_e32 v11, v7
	;; [unrolled: 1-line block ×4, first 2 shown]
	s_mov_b64 s[22:23], 0
	v_mov_b32_e32 v10, v6
	v_mov_b32_e32 v12, v18
	;; [unrolled: 1-line block ×4, first 2 shown]
.LBB32_10:                              ;   Parent Loop BB32_8 Depth=1
                                        ; =>  This Inner Loop Header: Depth=2
	flat_load_dwordx4 v[14:17], v[10:11]
	ds_read_b128 v[25:28], v12
	v_add_u32_e32 v13, 0x100, v13
	v_add_co_u32_e32 v10, vcc, 0x1000, v10
	v_cmp_le_i32_e64 s[8:9], s12, v13
	v_add_u32_e32 v12, 0x1000, v12
	s_or_b64 s[22:23], s[8:9], s[22:23]
	v_addc_co_u32_e32 v11, vcc, 0, v11, vcc
	s_waitcnt vmcnt(0) lgkmcnt(0)
	v_mul_f64 v[29:30], v[16:17], v[27:28]
	v_mul_f64 v[16:17], v[16:17], v[25:26]
	v_fma_f64 v[25:26], v[14:15], v[25:26], v[29:30]
	v_fma_f64 v[14:15], v[14:15], v[27:28], -v[16:17]
	v_add_f64 v[2:3], v[2:3], v[25:26]
	v_add_f64 v[4:5], v[4:5], v[14:15]
	s_andn2_b64 exec, exec, s[22:23]
	s_cbranch_execnz .LBB32_10
; %bb.11:                               ;   in Loop: Header=BB32_8 Depth=1
	s_or_b64 exec, exec, s[22:23]
.LBB32_12:                              ;   in Loop: Header=BB32_8 Depth=1
	s_or_b64 exec, exec, s[14:15]
	s_and_b64 vcc, exec, s[18:19]
	s_cbranch_vccz .LBB32_19
; %bb.13:                               ;   in Loop: Header=BB32_8 Depth=1
	v_cmp_ne_u32_e32 vcc, 63, v23
	v_addc_co_u32_e32 v10, vcc, 0, v22, vcc
	v_lshlrev_b32_e32 v13, 2, v10
	ds_bpermute_b32 v10, v13, v2
	ds_bpermute_b32 v11, v13, v3
	;; [unrolled: 1-line block ×4, first 2 shown]
	v_cmp_gt_u32_e32 vcc, 62, v23
	v_cndmask_b32_e64 v14, 0, 2, vcc
	s_waitcnt lgkmcnt(0)
	v_add_f64 v[10:11], v[2:3], v[10:11]
	v_add_lshl_u32 v17, v14, v22, 2
	s_waitcnt lgkmcnt(0)
	v_add_f64 v[12:13], v[4:5], v[12:13]
	v_cmp_gt_u32_e32 vcc, 60, v23
	ds_bpermute_b32 v14, v17, v10
	ds_bpermute_b32 v15, v17, v11
	ds_bpermute_b32 v16, v17, v12
	ds_bpermute_b32 v17, v17, v13
	s_waitcnt lgkmcnt(0)
	v_add_f64 v[10:11], v[10:11], v[14:15]
	v_cndmask_b32_e64 v14, 0, 4, vcc
	s_waitcnt lgkmcnt(0)
	v_add_f64 v[12:13], v[12:13], v[16:17]
	v_add_lshl_u32 v17, v14, v22, 2
	v_cmp_gt_u32_e32 vcc, 56, v23
	ds_bpermute_b32 v14, v17, v10
	ds_bpermute_b32 v15, v17, v11
	ds_bpermute_b32 v16, v17, v12
	ds_bpermute_b32 v17, v17, v13
	s_waitcnt lgkmcnt(0)
	v_add_f64 v[10:11], v[10:11], v[14:15]
	v_cndmask_b32_e64 v14, 0, 8, vcc
	s_waitcnt lgkmcnt(0)
	v_add_f64 v[12:13], v[12:13], v[16:17]
	v_add_lshl_u32 v17, v14, v22, 2
	v_cmp_gt_u32_e32 vcc, 48, v23
	ds_bpermute_b32 v14, v17, v10
	ds_bpermute_b32 v15, v17, v11
	ds_bpermute_b32 v16, v17, v12
	ds_bpermute_b32 v17, v17, v13
	s_waitcnt lgkmcnt(0)
	v_add_f64 v[10:11], v[10:11], v[14:15]
	v_cndmask_b32_e64 v14, 0, 16, vcc
	s_waitcnt lgkmcnt(0)
	v_add_f64 v[12:13], v[12:13], v[16:17]
	v_add_lshl_u32 v17, v14, v22, 2
	ds_bpermute_b32 v14, v17, v10
	ds_bpermute_b32 v15, v17, v11
	;; [unrolled: 1-line block ×4, first 2 shown]
	s_waitcnt lgkmcnt(0)
	v_add_f64 v[10:11], v[10:11], v[14:15]
	s_waitcnt lgkmcnt(0)
	v_add_f64 v[12:13], v[12:13], v[16:17]
	ds_bpermute_b32 v14, v24, v10
	ds_bpermute_b32 v15, v24, v11
	;; [unrolled: 1-line block ×4, first 2 shown]
	s_waitcnt lgkmcnt(0)
	v_add_f64 v[10:11], v[10:11], v[14:15]
	s_waitcnt lgkmcnt(0)
	v_add_f64 v[12:13], v[12:13], v[16:17]
	s_and_saveexec_b64 s[8:9], s[4:5]
; %bb.14:                               ;   in Loop: Header=BB32_8 Depth=1
	ds_write2_b64 v20, v[10:11], v[12:13] offset1:1
; %bb.15:                               ;   in Loop: Header=BB32_8 Depth=1
	s_or_b64 exec, exec, s[8:9]
	s_mov_b64 s[14:15], 0
	s_mov_b64 s[8:9], 0
	s_waitcnt vmcnt(0) lgkmcnt(0)
	s_barrier
                                        ; implicit-def: $vgpr14_vgpr15
                                        ; implicit-def: $vgpr16_vgpr17
	s_and_saveexec_b64 s[22:23], s[6:7]
	s_xor_b64 s[22:23], exec, s[22:23]
	s_cbranch_execz .LBB32_17
; %bb.16:                               ;   in Loop: Header=BB32_8 Depth=1
	ds_read_b128 v[14:17], v19 offset:32784
	ds_read_b128 v[25:28], v19 offset:32800
	s_mov_b64 s[8:9], exec
	s_waitcnt lgkmcnt(1)
	v_add_f64 v[10:11], v[10:11], v[14:15]
	v_add_f64 v[12:13], v[12:13], v[16:17]
	s_waitcnt lgkmcnt(0)
	v_add_f64 v[14:15], v[10:11], v[25:26]
	v_add_f64 v[25:26], v[12:13], v[27:28]
	ds_read_b128 v[10:13], v19 offset:32816
	s_waitcnt lgkmcnt(0)
	v_add_f64 v[16:17], v[14:15], v[10:11]
	v_add_f64 v[14:15], v[25:26], v[12:13]
.LBB32_17:                              ;   in Loop: Header=BB32_8 Depth=1
	s_or_b64 exec, exec, s[22:23]
	s_and_b64 vcc, exec, s[14:15]
	s_cbranch_vccnz .LBB32_20
.LBB32_18:                              ;   in Loop: Header=BB32_8 Depth=1
	v_mov_b32_e32 v4, v14
	v_mov_b32_e32 v2, v16
	;; [unrolled: 1-line block ×4, first 2 shown]
	s_and_saveexec_b64 s[14:15], s[8:9]
	s_cbranch_execnz .LBB32_21
	s_branch .LBB32_22
.LBB32_19:                              ;   in Loop: Header=BB32_8 Depth=1
	s_mov_b64 s[8:9], 0
                                        ; implicit-def: $vgpr14_vgpr15
                                        ; implicit-def: $vgpr16_vgpr17
	s_cbranch_execz .LBB32_18
.LBB32_20:                              ;   in Loop: Header=BB32_8 Depth=1
	s_andn2_b64 s[8:9], s[8:9], exec
	s_and_b64 s[14:15], s[6:7], exec
	s_or_b64 s[8:9], s[8:9], s[14:15]
	s_and_saveexec_b64 s[14:15], s[8:9]
.LBB32_21:                              ;   in Loop: Header=BB32_8 Depth=1
	ds_write_b128 v19, v[2:5] offset:32768
.LBB32_22:                              ;   in Loop: Header=BB32_8 Depth=1
	s_or_b64 exec, exec, s[14:15]
	s_waitcnt vmcnt(0) lgkmcnt(0)
	s_barrier
	s_and_saveexec_b64 s[8:9], s[0:1]
	s_cbranch_execz .LBB32_7
; %bb.23:                               ;   in Loop: Header=BB32_8 Depth=1
	global_load_dwordx4 v[10:13], v19, s[16:17]
	ds_read_b128 v[2:5], v19 offset:32768
	s_mov_b64 s[14:15], 0
	s_waitcnt vmcnt(0) lgkmcnt(0)
	v_mul_f64 v[14:15], v[12:13], v[4:5]
	v_mul_f64 v[12:13], v[12:13], v[2:3]
	v_fma_f64 v[2:3], v[2:3], -v[10:11], -v[14:15]
	v_fma_f64 v[4:5], v[10:11], v[4:5], -v[12:13]
	v_mov_b32_e32 v11, v7
	v_mov_b32_e32 v13, v1
	;; [unrolled: 1-line block ×5, first 2 shown]
.LBB32_24:                              ;   Parent Loop BB32_8 Depth=1
                                        ; =>  This Inner Loop Header: Depth=2
	flat_load_dwordx4 v[25:28], v[10:11]
	ds_read_b128 v[29:32], v14
	v_add_co_u32_e32 v12, vcc, s24, v12
	v_addc_co_u32_e32 v13, vcc, 0, v13, vcc
	s_waitcnt lgkmcnt(0)
	v_mul_f64 v[15:16], v[4:5], v[31:32]
	v_mul_f64 v[31:32], v[2:3], v[31:32]
	v_cmp_le_i64_e32 vcc, s[12:13], v[12:13]
	v_add_u32_e32 v14, 0x1000, v14
	s_or_b64 s[14:15], vcc, s[14:15]
	v_fma_f64 v[15:16], v[2:3], v[29:30], -v[15:16]
	v_fma_f64 v[29:30], v[4:5], v[29:30], v[31:32]
	s_waitcnt vmcnt(0)
	v_add_f64 v[25:26], v[25:26], v[15:16]
	v_add_f64 v[27:28], v[29:30], v[27:28]
	flat_store_dwordx4 v[10:11], v[25:28]
	v_add_co_u32_e32 v10, vcc, 0x1000, v10
	v_addc_co_u32_e32 v11, vcc, 0, v11, vcc
	s_andn2_b64 exec, exec, s[14:15]
	s_cbranch_execnz .LBB32_24
	s_branch .LBB32_7
.LBB32_25:
	s_endpgm
	.section	.rodata,"a",@progbits
	.p2align	6, 0x0
	.amdhsa_kernel _ZN9rocsolver6v33100L22larf_left_kernel_smallILi256E19rocblas_complex_numIdElPKPS3_EEvT1_S7_T2_lS7_lPKT0_lS8_lS7_l
		.amdhsa_group_segment_fixed_size 36864
		.amdhsa_private_segment_fixed_size 0
		.amdhsa_kernarg_size 96
		.amdhsa_user_sgpr_count 6
		.amdhsa_user_sgpr_private_segment_buffer 1
		.amdhsa_user_sgpr_dispatch_ptr 0
		.amdhsa_user_sgpr_queue_ptr 0
		.amdhsa_user_sgpr_kernarg_segment_ptr 1
		.amdhsa_user_sgpr_dispatch_id 0
		.amdhsa_user_sgpr_flat_scratch_init 0
		.amdhsa_user_sgpr_private_segment_size 0
		.amdhsa_uses_dynamic_stack 0
		.amdhsa_system_sgpr_private_segment_wavefront_offset 0
		.amdhsa_system_sgpr_workgroup_id_x 1
		.amdhsa_system_sgpr_workgroup_id_y 1
		.amdhsa_system_sgpr_workgroup_id_z 0
		.amdhsa_system_sgpr_workgroup_info 0
		.amdhsa_system_vgpr_workitem_id 0
		.amdhsa_next_free_vgpr 129
		.amdhsa_next_free_sgpr 98
		.amdhsa_reserve_vcc 1
		.amdhsa_reserve_flat_scratch 0
		.amdhsa_float_round_mode_32 0
		.amdhsa_float_round_mode_16_64 0
		.amdhsa_float_denorm_mode_32 3
		.amdhsa_float_denorm_mode_16_64 3
		.amdhsa_dx10_clamp 1
		.amdhsa_ieee_mode 1
		.amdhsa_fp16_overflow 0
		.amdhsa_exception_fp_ieee_invalid_op 0
		.amdhsa_exception_fp_denorm_src 0
		.amdhsa_exception_fp_ieee_div_zero 0
		.amdhsa_exception_fp_ieee_overflow 0
		.amdhsa_exception_fp_ieee_underflow 0
		.amdhsa_exception_fp_ieee_inexact 0
		.amdhsa_exception_int_div_zero 0
	.end_amdhsa_kernel
	.section	.text._ZN9rocsolver6v33100L22larf_left_kernel_smallILi256E19rocblas_complex_numIdElPKPS3_EEvT1_S7_T2_lS7_lPKT0_lS8_lS7_l,"axG",@progbits,_ZN9rocsolver6v33100L22larf_left_kernel_smallILi256E19rocblas_complex_numIdElPKPS3_EEvT1_S7_T2_lS7_lPKT0_lS8_lS7_l,comdat
.Lfunc_end32:
	.size	_ZN9rocsolver6v33100L22larf_left_kernel_smallILi256E19rocblas_complex_numIdElPKPS3_EEvT1_S7_T2_lS7_lPKT0_lS8_lS7_l, .Lfunc_end32-_ZN9rocsolver6v33100L22larf_left_kernel_smallILi256E19rocblas_complex_numIdElPKPS3_EEvT1_S7_T2_lS7_lPKT0_lS8_lS7_l
                                        ; -- End function
	.set _ZN9rocsolver6v33100L22larf_left_kernel_smallILi256E19rocblas_complex_numIdElPKPS3_EEvT1_S7_T2_lS7_lPKT0_lS8_lS7_l.num_vgpr, 33
	.set _ZN9rocsolver6v33100L22larf_left_kernel_smallILi256E19rocblas_complex_numIdElPKPS3_EEvT1_S7_T2_lS7_lPKT0_lS8_lS7_l.num_agpr, 0
	.set _ZN9rocsolver6v33100L22larf_left_kernel_smallILi256E19rocblas_complex_numIdElPKPS3_EEvT1_S7_T2_lS7_lPKT0_lS8_lS7_l.numbered_sgpr, 32
	.set _ZN9rocsolver6v33100L22larf_left_kernel_smallILi256E19rocblas_complex_numIdElPKPS3_EEvT1_S7_T2_lS7_lPKT0_lS8_lS7_l.num_named_barrier, 0
	.set _ZN9rocsolver6v33100L22larf_left_kernel_smallILi256E19rocblas_complex_numIdElPKPS3_EEvT1_S7_T2_lS7_lPKT0_lS8_lS7_l.private_seg_size, 0
	.set _ZN9rocsolver6v33100L22larf_left_kernel_smallILi256E19rocblas_complex_numIdElPKPS3_EEvT1_S7_T2_lS7_lPKT0_lS8_lS7_l.uses_vcc, 1
	.set _ZN9rocsolver6v33100L22larf_left_kernel_smallILi256E19rocblas_complex_numIdElPKPS3_EEvT1_S7_T2_lS7_lPKT0_lS8_lS7_l.uses_flat_scratch, 0
	.set _ZN9rocsolver6v33100L22larf_left_kernel_smallILi256E19rocblas_complex_numIdElPKPS3_EEvT1_S7_T2_lS7_lPKT0_lS8_lS7_l.has_dyn_sized_stack, 0
	.set _ZN9rocsolver6v33100L22larf_left_kernel_smallILi256E19rocblas_complex_numIdElPKPS3_EEvT1_S7_T2_lS7_lPKT0_lS8_lS7_l.has_recursion, 0
	.set _ZN9rocsolver6v33100L22larf_left_kernel_smallILi256E19rocblas_complex_numIdElPKPS3_EEvT1_S7_T2_lS7_lPKT0_lS8_lS7_l.has_indirect_call, 0
	.section	.AMDGPU.csdata,"",@progbits
; Kernel info:
; codeLenInByte = 1632
; TotalNumSgprs: 36
; NumVgprs: 33
; ScratchSize: 0
; MemoryBound: 0
; FloatMode: 240
; IeeeMode: 1
; LDSByteSize: 36864 bytes/workgroup (compile time only)
; SGPRBlocks: 12
; VGPRBlocks: 32
; NumSGPRsForWavesPerEU: 102
; NumVGPRsForWavesPerEU: 129
; Occupancy: 1
; WaveLimiterHint : 0
; COMPUTE_PGM_RSRC2:SCRATCH_EN: 0
; COMPUTE_PGM_RSRC2:USER_SGPR: 6
; COMPUTE_PGM_RSRC2:TRAP_HANDLER: 0
; COMPUTE_PGM_RSRC2:TGID_X_EN: 1
; COMPUTE_PGM_RSRC2:TGID_Y_EN: 1
; COMPUTE_PGM_RSRC2:TGID_Z_EN: 0
; COMPUTE_PGM_RSRC2:TIDIG_COMP_CNT: 0
	.section	.text._ZN9rocsolver6v33100L22larf_left_kernel_smallILi512E19rocblas_complex_numIdElPKPS3_EEvT1_S7_T2_lS7_lPKT0_lS8_lS7_l,"axG",@progbits,_ZN9rocsolver6v33100L22larf_left_kernel_smallILi512E19rocblas_complex_numIdElPKPS3_EEvT1_S7_T2_lS7_lPKT0_lS8_lS7_l,comdat
	.globl	_ZN9rocsolver6v33100L22larf_left_kernel_smallILi512E19rocblas_complex_numIdElPKPS3_EEvT1_S7_T2_lS7_lPKT0_lS8_lS7_l ; -- Begin function _ZN9rocsolver6v33100L22larf_left_kernel_smallILi512E19rocblas_complex_numIdElPKPS3_EEvT1_S7_T2_lS7_lPKT0_lS8_lS7_l
	.p2align	8
	.type	_ZN9rocsolver6v33100L22larf_left_kernel_smallILi512E19rocblas_complex_numIdElPKPS3_EEvT1_S7_T2_lS7_lPKT0_lS8_lS7_l,@function
_ZN9rocsolver6v33100L22larf_left_kernel_smallILi512E19rocblas_complex_numIdElPKPS3_EEvT1_S7_T2_lS7_lPKT0_lS8_lS7_l: ; @_ZN9rocsolver6v33100L22larf_left_kernel_smallILi512E19rocblas_complex_numIdElPKPS3_EEvT1_S7_T2_lS7_lPKT0_lS8_lS7_l
; %bb.0:
	s_mov_b32 s10, s7
	s_load_dwordx8 s[12:19], s[4:5], 0x0
	s_load_dwordx2 s[2:3], s[4:5], 0x20
	s_load_dwordx8 s[20:27], s[4:5], 0x30
	s_load_dwordx2 s[8:9], s[4:5], 0x50
	s_mov_b32 s7, 0
	s_lshl_b64 s[0:1], s[6:7], 3
	s_waitcnt lgkmcnt(0)
	s_add_u32 s16, s16, s0
	s_addc_u32 s17, s17, s1
	v_cmp_gt_i64_e64 s[4:5], s[2:3], 0
	s_add_u32 s0, s24, s0
	s_addc_u32 s1, s25, s1
	s_mov_b64 s[28:29], 0
	s_and_b64 vcc, exec, s[4:5]
	s_cbranch_vccnz .LBB33_2
; %bb.1:
	s_sub_u32 s4, 1, s12
	s_subb_u32 s5, 0, s13
	s_mul_i32 s5, s2, s5
	s_mul_hi_u32 s7, s2, s4
	s_add_i32 s5, s7, s5
	s_mul_i32 s7, s3, s4
	s_add_i32 s29, s5, s7
	s_mul_i32 s28, s2, s4
.LBB33_2:
	s_load_dwordx2 s[24:25], s[0:1], 0x0
	v_mov_b32_e32 v1, 0
	v_cmp_gt_i64_e64 s[0:1], s[12:13], v[0:1]
	v_lshlrev_b32_e32 v16, 4, v0
	s_and_saveexec_b64 s[4:5], s[0:1]
	s_cbranch_execz .LBB33_5
; %bb.3:
	v_mad_u64_u32 v[2:3], s[30:31], s2, v0, 0
	s_load_dwordx2 s[16:17], s[16:17], 0x0
	s_lshl_b64 s[28:29], s[28:29], 4
	v_mad_u64_u32 v[3:4], s[30:31], s3, v0, v[3:4]
	s_lshl_b64 s[18:19], s[18:19], 4
	s_waitcnt lgkmcnt(0)
	s_add_u32 s7, s16, s18
	s_addc_u32 s11, s17, s19
	v_lshlrev_b64 v[2:3], 4, v[2:3]
	s_add_u32 s7, s7, s28
	s_addc_u32 s11, s11, s29
	v_mov_b32_e32 v4, s11
	v_add_co_u32_e32 v2, vcc, s7, v2
	v_addc_co_u32_e32 v3, vcc, v4, v3, vcc
	s_lshl_b64 s[16:17], s[2:3], 13
	v_mov_b32_e32 v5, v1
	v_lshlrev_b32_e32 v6, 4, v0
	s_mov_b64 s[18:19], 0
	v_mov_b32_e32 v7, s17
	v_mov_b32_e32 v4, v0
.LBB33_4:                               ; =>This Inner Loop Header: Depth=1
	flat_load_dwordx4 v[8:11], v[2:3]
	v_add_co_u32_e32 v4, vcc, 0x200, v4
	v_addc_co_u32_e32 v5, vcc, 0, v5, vcc
	v_cmp_le_i64_e32 vcc, s[12:13], v[4:5]
	v_add_co_u32_e64 v2, s[2:3], s16, v2
	v_addc_co_u32_e64 v3, s[2:3], v3, v7, s[2:3]
	s_or_b64 s[18:19], vcc, s[18:19]
	s_waitcnt vmcnt(0) lgkmcnt(0)
	ds_write2_b64 v6, v[8:9], v[10:11] offset1:1
	v_add_u32_e32 v6, 0x2000, v6
	s_andn2_b64 exec, exec, s[18:19]
	s_cbranch_execnz .LBB33_4
.LBB33_5:
	s_or_b64 exec, exec, s[4:5]
	s_mov_b32 s11, 0
	v_mov_b32_e32 v2, s10
	v_mov_b32_e32 v3, s11
	v_cmp_le_i64_e32 vcc, s[14:15], v[2:3]
	s_waitcnt lgkmcnt(0)
	s_barrier
	s_cbranch_vccnz .LBB33_25
; %bb.6:
	s_mul_i32 s2, s23, s6
	s_mul_hi_u32 s3, s22, s6
	s_add_i32 s3, s3, s2
	s_mul_i32 s2, s22, s6
	s_lshl_b64 s[2:3], s[2:3], 4
	s_add_u32 s16, s20, s2
	s_addc_u32 s17, s21, s3
	s_cmp_gt_i32 s12, 1
	s_mul_i32 s20, s9, s10
	s_mul_hi_u32 s21, s8, s10
	s_cselect_b64 s[18:19], -1, 0
	s_add_i32 s21, s21, s20
	s_mul_i32 s20, s8, s10
	s_lshl_b64 s[20:21], s[20:21], 4
	s_lshl_b64 s[22:23], s[26:27], 4
	s_add_u32 s20, s20, s22
	v_and_b32_e32 v2, 63, v0
	s_addc_u32 s21, s21, s23
	v_cmp_eq_u32_e64 s[4:5], 0, v2
	v_lshrrev_b32_e32 v2, 2, v0
	s_add_u32 s20, s24, s20
	v_lshlrev_b32_e32 v3, 4, v0
	s_addc_u32 s21, s25, s21
	v_or_b32_e32 v18, 0x8000, v2
	v_mbcnt_lo_u32_b32 v2, -1, 0
	v_mov_b32_e32 v4, s21
	v_add_co_u32_e32 v6, vcc, s20, v3
	v_mbcnt_hi_u32_b32 v19, -1, v2
	v_mov_b32_e32 v2, 0x80
	v_cmp_gt_i32_e64 s[2:3], s12, v0
	v_cmp_eq_u32_e64 s[6:7], 0, v0
	v_mov_b32_e32 v17, 0
	v_addc_co_u32_e32 v7, vcc, 0, v4, vcc
	s_lshl_b64 s[20:21], s[8:9], 10
	s_movk_i32 s26, 0x200
	v_and_b32_e32 v20, 63, v19
	v_lshl_or_b32 v21, v19, 2, v2
	s_branch .LBB33_8
.LBB33_7:                               ;   in Loop: Header=BB33_8 Depth=1
	s_or_b64 exec, exec, s[8:9]
	s_add_u32 s10, s10, 64
	v_mov_b32_e32 v2, s14
	s_addc_u32 s11, s11, 0
	v_mov_b32_e32 v3, s15
	v_cmp_ge_i64_e32 vcc, s[10:11], v[2:3]
	v_mov_b32_e32 v4, s21
	v_add_co_u32_e64 v6, s[8:9], s20, v6
	v_addc_co_u32_e64 v7, s[8:9], v7, v4, s[8:9]
	s_cbranch_vccnz .LBB33_25
.LBB33_8:                               ; =>This Loop Header: Depth=1
                                        ;     Child Loop BB33_10 Depth 2
                                        ;     Child Loop BB33_24 Depth 2
	v_mov_b32_e32 v4, 0
	v_mov_b32_e32 v2, 0
	;; [unrolled: 1-line block ×4, first 2 shown]
	s_and_saveexec_b64 s[22:23], s[2:3]
	s_cbranch_execz .LBB33_12
; %bb.9:                                ;   in Loop: Header=BB33_8 Depth=1
	v_mov_b32_e32 v4, 0
	v_mov_b32_e32 v9, v7
	;; [unrolled: 1-line block ×4, first 2 shown]
	s_mov_b64 s[24:25], 0
	v_mov_b32_e32 v8, v6
	v_mov_b32_e32 v10, v16
	;; [unrolled: 1-line block ×4, first 2 shown]
.LBB33_10:                              ;   Parent Loop BB33_8 Depth=1
                                        ; =>  This Inner Loop Header: Depth=2
	flat_load_dwordx4 v[12:15], v[8:9]
	ds_read_b128 v[22:25], v10
	v_add_u32_e32 v11, 0x200, v11
	v_add_co_u32_e32 v8, vcc, 0x2000, v8
	v_cmp_le_i32_e64 s[8:9], s12, v11
	v_add_u32_e32 v10, 0x2000, v10
	s_or_b64 s[24:25], s[8:9], s[24:25]
	v_addc_co_u32_e32 v9, vcc, 0, v9, vcc
	s_waitcnt vmcnt(0) lgkmcnt(0)
	v_mul_f64 v[26:27], v[14:15], v[24:25]
	v_mul_f64 v[14:15], v[14:15], v[22:23]
	v_fma_f64 v[22:23], v[12:13], v[22:23], v[26:27]
	v_fma_f64 v[12:13], v[12:13], v[24:25], -v[14:15]
	v_add_f64 v[2:3], v[2:3], v[22:23]
	v_add_f64 v[4:5], v[4:5], v[12:13]
	s_andn2_b64 exec, exec, s[24:25]
	s_cbranch_execnz .LBB33_10
; %bb.11:                               ;   in Loop: Header=BB33_8 Depth=1
	s_or_b64 exec, exec, s[24:25]
.LBB33_12:                              ;   in Loop: Header=BB33_8 Depth=1
	s_or_b64 exec, exec, s[22:23]
	s_and_b64 vcc, exec, s[18:19]
	s_cbranch_vccz .LBB33_19
; %bb.13:                               ;   in Loop: Header=BB33_8 Depth=1
	v_cmp_ne_u32_e32 vcc, 63, v20
	v_addc_co_u32_e32 v8, vcc, 0, v19, vcc
	v_lshlrev_b32_e32 v11, 2, v8
	ds_bpermute_b32 v8, v11, v2
	ds_bpermute_b32 v9, v11, v3
	;; [unrolled: 1-line block ×4, first 2 shown]
	v_cmp_gt_u32_e32 vcc, 62, v20
	v_cndmask_b32_e64 v12, 0, 2, vcc
	s_waitcnt lgkmcnt(0)
	v_add_f64 v[8:9], v[2:3], v[8:9]
	v_add_lshl_u32 v15, v12, v19, 2
	s_waitcnt lgkmcnt(0)
	v_add_f64 v[10:11], v[4:5], v[10:11]
	v_cmp_gt_u32_e32 vcc, 60, v20
	ds_bpermute_b32 v12, v15, v8
	ds_bpermute_b32 v13, v15, v9
	ds_bpermute_b32 v14, v15, v10
	ds_bpermute_b32 v15, v15, v11
	s_waitcnt lgkmcnt(0)
	v_add_f64 v[8:9], v[8:9], v[12:13]
	v_cndmask_b32_e64 v12, 0, 4, vcc
	s_waitcnt lgkmcnt(0)
	v_add_f64 v[10:11], v[10:11], v[14:15]
	v_add_lshl_u32 v15, v12, v19, 2
	v_cmp_gt_u32_e32 vcc, 56, v20
	ds_bpermute_b32 v12, v15, v8
	ds_bpermute_b32 v13, v15, v9
	ds_bpermute_b32 v14, v15, v10
	ds_bpermute_b32 v15, v15, v11
	s_waitcnt lgkmcnt(0)
	v_add_f64 v[8:9], v[8:9], v[12:13]
	v_cndmask_b32_e64 v12, 0, 8, vcc
	s_waitcnt lgkmcnt(0)
	v_add_f64 v[10:11], v[10:11], v[14:15]
	v_add_lshl_u32 v15, v12, v19, 2
	;; [unrolled: 11-line block ×3, first 2 shown]
	ds_bpermute_b32 v12, v15, v8
	ds_bpermute_b32 v13, v15, v9
	;; [unrolled: 1-line block ×4, first 2 shown]
	s_waitcnt lgkmcnt(0)
	v_add_f64 v[8:9], v[8:9], v[12:13]
	s_waitcnt lgkmcnt(0)
	v_add_f64 v[10:11], v[10:11], v[14:15]
	ds_bpermute_b32 v12, v21, v8
	ds_bpermute_b32 v13, v21, v9
	;; [unrolled: 1-line block ×4, first 2 shown]
	s_waitcnt lgkmcnt(0)
	v_add_f64 v[8:9], v[8:9], v[12:13]
	s_waitcnt lgkmcnt(0)
	v_add_f64 v[10:11], v[10:11], v[14:15]
	s_and_saveexec_b64 s[8:9], s[4:5]
; %bb.14:                               ;   in Loop: Header=BB33_8 Depth=1
	ds_write2_b64 v18, v[8:9], v[10:11] offset1:1
; %bb.15:                               ;   in Loop: Header=BB33_8 Depth=1
	s_or_b64 exec, exec, s[8:9]
	s_mov_b64 s[22:23], 0
	s_mov_b64 s[8:9], 0
	s_waitcnt vmcnt(0) lgkmcnt(0)
	s_barrier
                                        ; implicit-def: $vgpr12_vgpr13
                                        ; implicit-def: $vgpr14_vgpr15
	s_and_saveexec_b64 s[24:25], s[6:7]
	s_xor_b64 s[24:25], exec, s[24:25]
	s_cbranch_execz .LBB33_17
; %bb.16:                               ;   in Loop: Header=BB33_8 Depth=1
	ds_read_b128 v[12:15], v17 offset:32784
	ds_read_b128 v[22:25], v17 offset:32800
	s_mov_b64 s[8:9], exec
	s_waitcnt lgkmcnt(1)
	v_add_f64 v[8:9], v[8:9], v[12:13]
	v_add_f64 v[10:11], v[10:11], v[14:15]
	s_waitcnt lgkmcnt(0)
	v_add_f64 v[22:23], v[8:9], v[22:23]
	v_add_f64 v[24:25], v[10:11], v[24:25]
	ds_read_b128 v[8:11], v17 offset:32816
	ds_read_b128 v[12:15], v17 offset:32832
	s_waitcnt lgkmcnt(1)
	v_add_f64 v[8:9], v[22:23], v[8:9]
	v_add_f64 v[10:11], v[24:25], v[10:11]
	s_waitcnt lgkmcnt(0)
	v_add_f64 v[22:23], v[8:9], v[12:13]
	v_add_f64 v[24:25], v[10:11], v[14:15]
	ds_read_b128 v[8:11], v17 offset:32848
	ds_read_b128 v[12:15], v17 offset:32864
	s_waitcnt lgkmcnt(1)
	v_add_f64 v[8:9], v[22:23], v[8:9]
	v_add_f64 v[10:11], v[24:25], v[10:11]
	s_waitcnt lgkmcnt(0)
	v_add_f64 v[12:13], v[8:9], v[12:13]
	v_add_f64 v[22:23], v[10:11], v[14:15]
	ds_read_b128 v[8:11], v17 offset:32880
	s_waitcnt lgkmcnt(0)
	v_add_f64 v[14:15], v[12:13], v[8:9]
	v_add_f64 v[12:13], v[22:23], v[10:11]
.LBB33_17:                              ;   in Loop: Header=BB33_8 Depth=1
	s_or_b64 exec, exec, s[24:25]
	s_and_b64 vcc, exec, s[22:23]
	s_cbranch_vccnz .LBB33_20
.LBB33_18:                              ;   in Loop: Header=BB33_8 Depth=1
	v_mov_b32_e32 v4, v12
	v_mov_b32_e32 v2, v14
	;; [unrolled: 1-line block ×4, first 2 shown]
	s_and_saveexec_b64 s[22:23], s[8:9]
	s_cbranch_execnz .LBB33_21
	s_branch .LBB33_22
.LBB33_19:                              ;   in Loop: Header=BB33_8 Depth=1
	s_mov_b64 s[8:9], 0
                                        ; implicit-def: $vgpr12_vgpr13
                                        ; implicit-def: $vgpr14_vgpr15
	s_cbranch_execz .LBB33_18
.LBB33_20:                              ;   in Loop: Header=BB33_8 Depth=1
	s_andn2_b64 s[8:9], s[8:9], exec
	s_and_b64 s[22:23], s[6:7], exec
	s_or_b64 s[8:9], s[8:9], s[22:23]
	s_and_saveexec_b64 s[22:23], s[8:9]
.LBB33_21:                              ;   in Loop: Header=BB33_8 Depth=1
	ds_write_b128 v17, v[2:5] offset:32768
.LBB33_22:                              ;   in Loop: Header=BB33_8 Depth=1
	s_or_b64 exec, exec, s[22:23]
	s_waitcnt vmcnt(0) lgkmcnt(0)
	s_barrier
	s_and_saveexec_b64 s[8:9], s[0:1]
	s_cbranch_execz .LBB33_7
; %bb.23:                               ;   in Loop: Header=BB33_8 Depth=1
	global_load_dwordx4 v[8:11], v17, s[16:17]
	ds_read_b128 v[2:5], v17 offset:32768
	s_mov_b64 s[22:23], 0
	s_waitcnt vmcnt(0) lgkmcnt(0)
	v_mul_f64 v[12:13], v[10:11], v[4:5]
	v_mul_f64 v[10:11], v[10:11], v[2:3]
	v_fma_f64 v[2:3], v[2:3], -v[8:9], -v[12:13]
	v_fma_f64 v[4:5], v[8:9], v[4:5], -v[10:11]
	v_mov_b32_e32 v9, v7
	v_mov_b32_e32 v11, v1
	;; [unrolled: 1-line block ×5, first 2 shown]
.LBB33_24:                              ;   Parent Loop BB33_8 Depth=1
                                        ; =>  This Inner Loop Header: Depth=2
	flat_load_dwordx4 v[22:25], v[8:9]
	ds_read_b128 v[26:29], v12
	v_add_co_u32_e32 v10, vcc, s26, v10
	v_addc_co_u32_e32 v11, vcc, 0, v11, vcc
	s_waitcnt lgkmcnt(0)
	v_mul_f64 v[13:14], v[4:5], v[28:29]
	v_mul_f64 v[28:29], v[2:3], v[28:29]
	v_cmp_le_i64_e32 vcc, s[12:13], v[10:11]
	v_add_u32_e32 v12, 0x2000, v12
	s_or_b64 s[22:23], vcc, s[22:23]
	v_fma_f64 v[13:14], v[2:3], v[26:27], -v[13:14]
	v_fma_f64 v[26:27], v[4:5], v[26:27], v[28:29]
	s_waitcnt vmcnt(0)
	v_add_f64 v[22:23], v[22:23], v[13:14]
	v_add_f64 v[24:25], v[26:27], v[24:25]
	flat_store_dwordx4 v[8:9], v[22:25]
	v_add_co_u32_e32 v8, vcc, 0x2000, v8
	v_addc_co_u32_e32 v9, vcc, 0, v9, vcc
	s_andn2_b64 exec, exec, s[22:23]
	s_cbranch_execnz .LBB33_24
	s_branch .LBB33_7
.LBB33_25:
	s_endpgm
	.section	.rodata,"a",@progbits
	.p2align	6, 0x0
	.amdhsa_kernel _ZN9rocsolver6v33100L22larf_left_kernel_smallILi512E19rocblas_complex_numIdElPKPS3_EEvT1_S7_T2_lS7_lPKT0_lS8_lS7_l
		.amdhsa_group_segment_fixed_size 40960
		.amdhsa_private_segment_fixed_size 0
		.amdhsa_kernarg_size 96
		.amdhsa_user_sgpr_count 6
		.amdhsa_user_sgpr_private_segment_buffer 1
		.amdhsa_user_sgpr_dispatch_ptr 0
		.amdhsa_user_sgpr_queue_ptr 0
		.amdhsa_user_sgpr_kernarg_segment_ptr 1
		.amdhsa_user_sgpr_dispatch_id 0
		.amdhsa_user_sgpr_flat_scratch_init 0
		.amdhsa_user_sgpr_private_segment_size 0
		.amdhsa_uses_dynamic_stack 0
		.amdhsa_system_sgpr_private_segment_wavefront_offset 0
		.amdhsa_system_sgpr_workgroup_id_x 1
		.amdhsa_system_sgpr_workgroup_id_y 1
		.amdhsa_system_sgpr_workgroup_id_z 0
		.amdhsa_system_sgpr_workgroup_info 0
		.amdhsa_system_vgpr_workitem_id 0
		.amdhsa_next_free_vgpr 85
		.amdhsa_next_free_sgpr 98
		.amdhsa_reserve_vcc 1
		.amdhsa_reserve_flat_scratch 0
		.amdhsa_float_round_mode_32 0
		.amdhsa_float_round_mode_16_64 0
		.amdhsa_float_denorm_mode_32 3
		.amdhsa_float_denorm_mode_16_64 3
		.amdhsa_dx10_clamp 1
		.amdhsa_ieee_mode 1
		.amdhsa_fp16_overflow 0
		.amdhsa_exception_fp_ieee_invalid_op 0
		.amdhsa_exception_fp_denorm_src 0
		.amdhsa_exception_fp_ieee_div_zero 0
		.amdhsa_exception_fp_ieee_overflow 0
		.amdhsa_exception_fp_ieee_underflow 0
		.amdhsa_exception_fp_ieee_inexact 0
		.amdhsa_exception_int_div_zero 0
	.end_amdhsa_kernel
	.section	.text._ZN9rocsolver6v33100L22larf_left_kernel_smallILi512E19rocblas_complex_numIdElPKPS3_EEvT1_S7_T2_lS7_lPKT0_lS8_lS7_l,"axG",@progbits,_ZN9rocsolver6v33100L22larf_left_kernel_smallILi512E19rocblas_complex_numIdElPKPS3_EEvT1_S7_T2_lS7_lPKT0_lS8_lS7_l,comdat
.Lfunc_end33:
	.size	_ZN9rocsolver6v33100L22larf_left_kernel_smallILi512E19rocblas_complex_numIdElPKPS3_EEvT1_S7_T2_lS7_lPKT0_lS8_lS7_l, .Lfunc_end33-_ZN9rocsolver6v33100L22larf_left_kernel_smallILi512E19rocblas_complex_numIdElPKPS3_EEvT1_S7_T2_lS7_lPKT0_lS8_lS7_l
                                        ; -- End function
	.set _ZN9rocsolver6v33100L22larf_left_kernel_smallILi512E19rocblas_complex_numIdElPKPS3_EEvT1_S7_T2_lS7_lPKT0_lS8_lS7_l.num_vgpr, 30
	.set _ZN9rocsolver6v33100L22larf_left_kernel_smallILi512E19rocblas_complex_numIdElPKPS3_EEvT1_S7_T2_lS7_lPKT0_lS8_lS7_l.num_agpr, 0
	.set _ZN9rocsolver6v33100L22larf_left_kernel_smallILi512E19rocblas_complex_numIdElPKPS3_EEvT1_S7_T2_lS7_lPKT0_lS8_lS7_l.numbered_sgpr, 32
	.set _ZN9rocsolver6v33100L22larf_left_kernel_smallILi512E19rocblas_complex_numIdElPKPS3_EEvT1_S7_T2_lS7_lPKT0_lS8_lS7_l.num_named_barrier, 0
	.set _ZN9rocsolver6v33100L22larf_left_kernel_smallILi512E19rocblas_complex_numIdElPKPS3_EEvT1_S7_T2_lS7_lPKT0_lS8_lS7_l.private_seg_size, 0
	.set _ZN9rocsolver6v33100L22larf_left_kernel_smallILi512E19rocblas_complex_numIdElPKPS3_EEvT1_S7_T2_lS7_lPKT0_lS8_lS7_l.uses_vcc, 1
	.set _ZN9rocsolver6v33100L22larf_left_kernel_smallILi512E19rocblas_complex_numIdElPKPS3_EEvT1_S7_T2_lS7_lPKT0_lS8_lS7_l.uses_flat_scratch, 0
	.set _ZN9rocsolver6v33100L22larf_left_kernel_smallILi512E19rocblas_complex_numIdElPKPS3_EEvT1_S7_T2_lS7_lPKT0_lS8_lS7_l.has_dyn_sized_stack, 0
	.set _ZN9rocsolver6v33100L22larf_left_kernel_smallILi512E19rocblas_complex_numIdElPKPS3_EEvT1_S7_T2_lS7_lPKT0_lS8_lS7_l.has_recursion, 0
	.set _ZN9rocsolver6v33100L22larf_left_kernel_smallILi512E19rocblas_complex_numIdElPKPS3_EEvT1_S7_T2_lS7_lPKT0_lS8_lS7_l.has_indirect_call, 0
	.section	.AMDGPU.csdata,"",@progbits
; Kernel info:
; codeLenInByte = 1744
; TotalNumSgprs: 36
; NumVgprs: 30
; ScratchSize: 0
; MemoryBound: 0
; FloatMode: 240
; IeeeMode: 1
; LDSByteSize: 40960 bytes/workgroup (compile time only)
; SGPRBlocks: 12
; VGPRBlocks: 21
; NumSGPRsForWavesPerEU: 102
; NumVGPRsForWavesPerEU: 85
; Occupancy: 2
; WaveLimiterHint : 0
; COMPUTE_PGM_RSRC2:SCRATCH_EN: 0
; COMPUTE_PGM_RSRC2:USER_SGPR: 6
; COMPUTE_PGM_RSRC2:TRAP_HANDLER: 0
; COMPUTE_PGM_RSRC2:TGID_X_EN: 1
; COMPUTE_PGM_RSRC2:TGID_Y_EN: 1
; COMPUTE_PGM_RSRC2:TGID_Z_EN: 0
; COMPUTE_PGM_RSRC2:TIDIG_COMP_CNT: 0
	.section	.text._ZN9rocsolver6v33100L22larf_left_kernel_smallILi1024E19rocblas_complex_numIdElPKPS3_EEvT1_S7_T2_lS7_lPKT0_lS8_lS7_l,"axG",@progbits,_ZN9rocsolver6v33100L22larf_left_kernel_smallILi1024E19rocblas_complex_numIdElPKPS3_EEvT1_S7_T2_lS7_lPKT0_lS8_lS7_l,comdat
	.globl	_ZN9rocsolver6v33100L22larf_left_kernel_smallILi1024E19rocblas_complex_numIdElPKPS3_EEvT1_S7_T2_lS7_lPKT0_lS8_lS7_l ; -- Begin function _ZN9rocsolver6v33100L22larf_left_kernel_smallILi1024E19rocblas_complex_numIdElPKPS3_EEvT1_S7_T2_lS7_lPKT0_lS8_lS7_l
	.p2align	8
	.type	_ZN9rocsolver6v33100L22larf_left_kernel_smallILi1024E19rocblas_complex_numIdElPKPS3_EEvT1_S7_T2_lS7_lPKT0_lS8_lS7_l,@function
_ZN9rocsolver6v33100L22larf_left_kernel_smallILi1024E19rocblas_complex_numIdElPKPS3_EEvT1_S7_T2_lS7_lPKT0_lS8_lS7_l: ; @_ZN9rocsolver6v33100L22larf_left_kernel_smallILi1024E19rocblas_complex_numIdElPKPS3_EEvT1_S7_T2_lS7_lPKT0_lS8_lS7_l
; %bb.0:
	s_mov_b32 s10, s7
	s_load_dwordx8 s[12:19], s[4:5], 0x0
	s_load_dwordx2 s[2:3], s[4:5], 0x20
	s_load_dwordx8 s[20:27], s[4:5], 0x30
	s_load_dwordx2 s[8:9], s[4:5], 0x50
	s_mov_b32 s7, 0
	s_lshl_b64 s[0:1], s[6:7], 3
	s_waitcnt lgkmcnt(0)
	s_add_u32 s16, s16, s0
	s_addc_u32 s17, s17, s1
	v_cmp_gt_i64_e64 s[4:5], s[2:3], 0
	s_add_u32 s0, s24, s0
	s_addc_u32 s1, s25, s1
	s_mov_b64 s[28:29], 0
	s_and_b64 vcc, exec, s[4:5]
	s_cbranch_vccnz .LBB34_2
; %bb.1:
	s_sub_u32 s4, 1, s12
	s_subb_u32 s5, 0, s13
	s_mul_i32 s5, s2, s5
	s_mul_hi_u32 s7, s2, s4
	s_add_i32 s5, s7, s5
	s_mul_i32 s7, s3, s4
	s_add_i32 s29, s5, s7
	s_mul_i32 s28, s2, s4
.LBB34_2:
	s_load_dwordx2 s[24:25], s[0:1], 0x0
	v_mov_b32_e32 v1, 0
	v_cmp_gt_i64_e64 s[0:1], s[12:13], v[0:1]
	v_lshlrev_b32_e32 v16, 4, v0
	s_and_saveexec_b64 s[4:5], s[0:1]
	s_cbranch_execz .LBB34_5
; %bb.3:
	v_mad_u64_u32 v[2:3], s[30:31], s2, v0, 0
	s_load_dwordx2 s[16:17], s[16:17], 0x0
	s_lshl_b64 s[28:29], s[28:29], 4
	v_mad_u64_u32 v[3:4], s[30:31], s3, v0, v[3:4]
	s_lshl_b64 s[18:19], s[18:19], 4
	s_waitcnt lgkmcnt(0)
	s_add_u32 s7, s16, s18
	s_addc_u32 s11, s17, s19
	v_lshlrev_b64 v[2:3], 4, v[2:3]
	s_add_u32 s7, s7, s28
	s_addc_u32 s11, s11, s29
	v_mov_b32_e32 v4, s11
	v_add_co_u32_e32 v2, vcc, s7, v2
	v_addc_co_u32_e32 v3, vcc, v4, v3, vcc
	s_lshl_b64 s[16:17], s[2:3], 14
	v_mov_b32_e32 v5, v1
	v_lshlrev_b32_e32 v6, 4, v0
	s_mov_b64 s[18:19], 0
	v_mov_b32_e32 v7, s17
	v_mov_b32_e32 v4, v0
.LBB34_4:                               ; =>This Inner Loop Header: Depth=1
	flat_load_dwordx4 v[8:11], v[2:3]
	v_add_co_u32_e32 v4, vcc, 0x400, v4
	v_addc_co_u32_e32 v5, vcc, 0, v5, vcc
	v_cmp_le_i64_e32 vcc, s[12:13], v[4:5]
	v_add_co_u32_e64 v2, s[2:3], s16, v2
	v_addc_co_u32_e64 v3, s[2:3], v3, v7, s[2:3]
	s_or_b64 s[18:19], vcc, s[18:19]
	s_waitcnt vmcnt(0) lgkmcnt(0)
	ds_write2_b64 v6, v[8:9], v[10:11] offset1:1
	v_add_u32_e32 v6, 0x4000, v6
	s_andn2_b64 exec, exec, s[18:19]
	s_cbranch_execnz .LBB34_4
.LBB34_5:
	s_or_b64 exec, exec, s[4:5]
	s_mov_b32 s11, 0
	v_mov_b32_e32 v2, s10
	v_mov_b32_e32 v3, s11
	v_cmp_le_i64_e32 vcc, s[14:15], v[2:3]
	s_waitcnt lgkmcnt(0)
	s_barrier
	s_cbranch_vccnz .LBB34_25
; %bb.6:
	s_mul_i32 s2, s23, s6
	s_mul_hi_u32 s3, s22, s6
	s_add_i32 s3, s3, s2
	s_mul_i32 s2, s22, s6
	s_lshl_b64 s[2:3], s[2:3], 4
	s_add_u32 s16, s20, s2
	s_addc_u32 s17, s21, s3
	s_cmp_gt_i32 s12, 1
	s_mul_i32 s20, s9, s10
	s_mul_hi_u32 s21, s8, s10
	s_cselect_b64 s[18:19], -1, 0
	s_add_i32 s21, s21, s20
	s_mul_i32 s20, s8, s10
	s_lshl_b64 s[20:21], s[20:21], 4
	s_lshl_b64 s[22:23], s[26:27], 4
	s_add_u32 s20, s20, s22
	v_and_b32_e32 v2, 63, v0
	s_addc_u32 s21, s21, s23
	v_cmp_eq_u32_e64 s[4:5], 0, v2
	v_lshrrev_b32_e32 v2, 2, v0
	s_add_u32 s20, s24, s20
	v_lshlrev_b32_e32 v3, 4, v0
	s_addc_u32 s21, s25, s21
	v_or_b32_e32 v18, 0x8000, v2
	v_mbcnt_lo_u32_b32 v2, -1, 0
	v_mov_b32_e32 v4, s21
	v_add_co_u32_e32 v6, vcc, s20, v3
	v_mbcnt_hi_u32_b32 v19, -1, v2
	v_mov_b32_e32 v2, 0x80
	v_cmp_gt_i32_e64 s[2:3], s12, v0
	v_cmp_eq_u32_e64 s[6:7], 0, v0
	v_mov_b32_e32 v17, 0
	v_addc_co_u32_e32 v7, vcc, 0, v4, vcc
	s_lshl_b64 s[20:21], s[8:9], 10
	s_movk_i32 s26, 0x400
	v_and_b32_e32 v20, 63, v19
	v_lshl_or_b32 v21, v19, 2, v2
	s_branch .LBB34_8
.LBB34_7:                               ;   in Loop: Header=BB34_8 Depth=1
	s_or_b64 exec, exec, s[8:9]
	s_add_u32 s10, s10, 64
	v_mov_b32_e32 v2, s14
	s_addc_u32 s11, s11, 0
	v_mov_b32_e32 v3, s15
	v_cmp_ge_i64_e32 vcc, s[10:11], v[2:3]
	v_mov_b32_e32 v4, s21
	v_add_co_u32_e64 v6, s[8:9], s20, v6
	v_addc_co_u32_e64 v7, s[8:9], v7, v4, s[8:9]
	s_cbranch_vccnz .LBB34_25
.LBB34_8:                               ; =>This Loop Header: Depth=1
                                        ;     Child Loop BB34_10 Depth 2
                                        ;     Child Loop BB34_24 Depth 2
	v_mov_b32_e32 v4, 0
	v_mov_b32_e32 v2, 0
	;; [unrolled: 1-line block ×4, first 2 shown]
	s_and_saveexec_b64 s[22:23], s[2:3]
	s_cbranch_execz .LBB34_12
; %bb.9:                                ;   in Loop: Header=BB34_8 Depth=1
	v_mov_b32_e32 v4, 0
	v_mov_b32_e32 v9, v7
	;; [unrolled: 1-line block ×4, first 2 shown]
	s_mov_b64 s[24:25], 0
	v_mov_b32_e32 v8, v6
	v_mov_b32_e32 v10, v16
	;; [unrolled: 1-line block ×4, first 2 shown]
.LBB34_10:                              ;   Parent Loop BB34_8 Depth=1
                                        ; =>  This Inner Loop Header: Depth=2
	flat_load_dwordx4 v[12:15], v[8:9]
	ds_read_b128 v[22:25], v10
	v_add_u32_e32 v11, 0x400, v11
	v_add_co_u32_e32 v8, vcc, 0x4000, v8
	v_cmp_le_i32_e64 s[8:9], s12, v11
	v_add_u32_e32 v10, 0x4000, v10
	s_or_b64 s[24:25], s[8:9], s[24:25]
	v_addc_co_u32_e32 v9, vcc, 0, v9, vcc
	s_waitcnt vmcnt(0) lgkmcnt(0)
	v_mul_f64 v[26:27], v[14:15], v[24:25]
	v_mul_f64 v[14:15], v[14:15], v[22:23]
	v_fma_f64 v[22:23], v[12:13], v[22:23], v[26:27]
	v_fma_f64 v[12:13], v[12:13], v[24:25], -v[14:15]
	v_add_f64 v[2:3], v[2:3], v[22:23]
	v_add_f64 v[4:5], v[4:5], v[12:13]
	s_andn2_b64 exec, exec, s[24:25]
	s_cbranch_execnz .LBB34_10
; %bb.11:                               ;   in Loop: Header=BB34_8 Depth=1
	s_or_b64 exec, exec, s[24:25]
.LBB34_12:                              ;   in Loop: Header=BB34_8 Depth=1
	s_or_b64 exec, exec, s[22:23]
	s_and_b64 vcc, exec, s[18:19]
	s_cbranch_vccz .LBB34_19
; %bb.13:                               ;   in Loop: Header=BB34_8 Depth=1
	v_cmp_ne_u32_e32 vcc, 63, v20
	v_addc_co_u32_e32 v8, vcc, 0, v19, vcc
	v_lshlrev_b32_e32 v11, 2, v8
	ds_bpermute_b32 v8, v11, v2
	ds_bpermute_b32 v9, v11, v3
	;; [unrolled: 1-line block ×4, first 2 shown]
	v_cmp_gt_u32_e32 vcc, 62, v20
	v_cndmask_b32_e64 v12, 0, 2, vcc
	s_waitcnt lgkmcnt(0)
	v_add_f64 v[8:9], v[2:3], v[8:9]
	v_add_lshl_u32 v15, v12, v19, 2
	s_waitcnt lgkmcnt(0)
	v_add_f64 v[10:11], v[4:5], v[10:11]
	v_cmp_gt_u32_e32 vcc, 60, v20
	ds_bpermute_b32 v12, v15, v8
	ds_bpermute_b32 v13, v15, v9
	ds_bpermute_b32 v14, v15, v10
	ds_bpermute_b32 v15, v15, v11
	s_waitcnt lgkmcnt(0)
	v_add_f64 v[8:9], v[8:9], v[12:13]
	v_cndmask_b32_e64 v12, 0, 4, vcc
	s_waitcnt lgkmcnt(0)
	v_add_f64 v[10:11], v[10:11], v[14:15]
	v_add_lshl_u32 v15, v12, v19, 2
	v_cmp_gt_u32_e32 vcc, 56, v20
	ds_bpermute_b32 v12, v15, v8
	ds_bpermute_b32 v13, v15, v9
	ds_bpermute_b32 v14, v15, v10
	ds_bpermute_b32 v15, v15, v11
	s_waitcnt lgkmcnt(0)
	v_add_f64 v[8:9], v[8:9], v[12:13]
	v_cndmask_b32_e64 v12, 0, 8, vcc
	s_waitcnt lgkmcnt(0)
	v_add_f64 v[10:11], v[10:11], v[14:15]
	v_add_lshl_u32 v15, v12, v19, 2
	;; [unrolled: 11-line block ×3, first 2 shown]
	ds_bpermute_b32 v12, v15, v8
	ds_bpermute_b32 v13, v15, v9
	;; [unrolled: 1-line block ×4, first 2 shown]
	s_waitcnt lgkmcnt(0)
	v_add_f64 v[8:9], v[8:9], v[12:13]
	s_waitcnt lgkmcnt(0)
	v_add_f64 v[10:11], v[10:11], v[14:15]
	ds_bpermute_b32 v12, v21, v8
	ds_bpermute_b32 v13, v21, v9
	;; [unrolled: 1-line block ×4, first 2 shown]
	s_waitcnt lgkmcnt(0)
	v_add_f64 v[8:9], v[8:9], v[12:13]
	s_waitcnt lgkmcnt(0)
	v_add_f64 v[10:11], v[10:11], v[14:15]
	s_and_saveexec_b64 s[8:9], s[4:5]
; %bb.14:                               ;   in Loop: Header=BB34_8 Depth=1
	ds_write2_b64 v18, v[8:9], v[10:11] offset1:1
; %bb.15:                               ;   in Loop: Header=BB34_8 Depth=1
	s_or_b64 exec, exec, s[8:9]
	s_mov_b64 s[22:23], 0
	s_mov_b64 s[8:9], 0
	s_waitcnt vmcnt(0) lgkmcnt(0)
	s_barrier
                                        ; implicit-def: $vgpr12_vgpr13
                                        ; implicit-def: $vgpr14_vgpr15
	s_and_saveexec_b64 s[24:25], s[6:7]
	s_xor_b64 s[24:25], exec, s[24:25]
	s_cbranch_execz .LBB34_17
; %bb.16:                               ;   in Loop: Header=BB34_8 Depth=1
	ds_read_b128 v[12:15], v17 offset:32784
	ds_read_b128 v[22:25], v17 offset:32800
	s_mov_b64 s[8:9], exec
	s_waitcnt lgkmcnt(1)
	v_add_f64 v[8:9], v[8:9], v[12:13]
	v_add_f64 v[10:11], v[10:11], v[14:15]
	s_waitcnt lgkmcnt(0)
	v_add_f64 v[22:23], v[8:9], v[22:23]
	v_add_f64 v[24:25], v[10:11], v[24:25]
	ds_read_b128 v[8:11], v17 offset:32816
	ds_read_b128 v[12:15], v17 offset:32832
	s_waitcnt lgkmcnt(1)
	v_add_f64 v[8:9], v[22:23], v[8:9]
	v_add_f64 v[10:11], v[24:25], v[10:11]
	s_waitcnt lgkmcnt(0)
	v_add_f64 v[22:23], v[8:9], v[12:13]
	v_add_f64 v[24:25], v[10:11], v[14:15]
	ds_read_b128 v[8:11], v17 offset:32848
	ds_read_b128 v[12:15], v17 offset:32864
	;; [unrolled: 8-line block ×6, first 2 shown]
	s_waitcnt lgkmcnt(1)
	v_add_f64 v[8:9], v[22:23], v[8:9]
	v_add_f64 v[10:11], v[24:25], v[10:11]
	s_waitcnt lgkmcnt(0)
	v_add_f64 v[12:13], v[8:9], v[12:13]
	v_add_f64 v[22:23], v[10:11], v[14:15]
	ds_read_b128 v[8:11], v17 offset:33008
	s_waitcnt lgkmcnt(0)
	v_add_f64 v[14:15], v[12:13], v[8:9]
	v_add_f64 v[12:13], v[22:23], v[10:11]
.LBB34_17:                              ;   in Loop: Header=BB34_8 Depth=1
	s_or_b64 exec, exec, s[24:25]
	s_and_b64 vcc, exec, s[22:23]
	s_cbranch_vccnz .LBB34_20
.LBB34_18:                              ;   in Loop: Header=BB34_8 Depth=1
	v_mov_b32_e32 v4, v12
	v_mov_b32_e32 v2, v14
	;; [unrolled: 1-line block ×4, first 2 shown]
	s_and_saveexec_b64 s[22:23], s[8:9]
	s_cbranch_execnz .LBB34_21
	s_branch .LBB34_22
.LBB34_19:                              ;   in Loop: Header=BB34_8 Depth=1
	s_mov_b64 s[8:9], 0
                                        ; implicit-def: $vgpr12_vgpr13
                                        ; implicit-def: $vgpr14_vgpr15
	s_cbranch_execz .LBB34_18
.LBB34_20:                              ;   in Loop: Header=BB34_8 Depth=1
	s_andn2_b64 s[8:9], s[8:9], exec
	s_and_b64 s[22:23], s[6:7], exec
	s_or_b64 s[8:9], s[8:9], s[22:23]
	s_and_saveexec_b64 s[22:23], s[8:9]
.LBB34_21:                              ;   in Loop: Header=BB34_8 Depth=1
	ds_write_b128 v17, v[2:5] offset:32768
.LBB34_22:                              ;   in Loop: Header=BB34_8 Depth=1
	s_or_b64 exec, exec, s[22:23]
	s_waitcnt vmcnt(0) lgkmcnt(0)
	s_barrier
	s_and_saveexec_b64 s[8:9], s[0:1]
	s_cbranch_execz .LBB34_7
; %bb.23:                               ;   in Loop: Header=BB34_8 Depth=1
	global_load_dwordx4 v[8:11], v17, s[16:17]
	ds_read_b128 v[2:5], v17 offset:32768
	s_mov_b64 s[22:23], 0
	s_waitcnt vmcnt(0) lgkmcnt(0)
	v_mul_f64 v[12:13], v[10:11], v[4:5]
	v_mul_f64 v[10:11], v[10:11], v[2:3]
	v_fma_f64 v[2:3], v[2:3], -v[8:9], -v[12:13]
	v_fma_f64 v[4:5], v[8:9], v[4:5], -v[10:11]
	v_mov_b32_e32 v9, v7
	v_mov_b32_e32 v11, v1
	v_mov_b32_e32 v8, v6
	v_mov_b32_e32 v12, v16
	v_mov_b32_e32 v10, v0
.LBB34_24:                              ;   Parent Loop BB34_8 Depth=1
                                        ; =>  This Inner Loop Header: Depth=2
	flat_load_dwordx4 v[22:25], v[8:9]
	ds_read_b128 v[26:29], v12
	v_add_co_u32_e32 v10, vcc, s26, v10
	v_addc_co_u32_e32 v11, vcc, 0, v11, vcc
	s_waitcnt lgkmcnt(0)
	v_mul_f64 v[13:14], v[4:5], v[28:29]
	v_mul_f64 v[28:29], v[2:3], v[28:29]
	v_cmp_le_i64_e32 vcc, s[12:13], v[10:11]
	v_add_u32_e32 v12, 0x4000, v12
	s_or_b64 s[22:23], vcc, s[22:23]
	v_fma_f64 v[13:14], v[2:3], v[26:27], -v[13:14]
	v_fma_f64 v[26:27], v[4:5], v[26:27], v[28:29]
	s_waitcnt vmcnt(0)
	v_add_f64 v[22:23], v[22:23], v[13:14]
	v_add_f64 v[24:25], v[26:27], v[24:25]
	flat_store_dwordx4 v[8:9], v[22:25]
	v_add_co_u32_e32 v8, vcc, 0x4000, v8
	v_addc_co_u32_e32 v9, vcc, 0, v9, vcc
	s_andn2_b64 exec, exec, s[22:23]
	s_cbranch_execnz .LBB34_24
	s_branch .LBB34_7
.LBB34_25:
	s_endpgm
	.section	.rodata,"a",@progbits
	.p2align	6, 0x0
	.amdhsa_kernel _ZN9rocsolver6v33100L22larf_left_kernel_smallILi1024E19rocblas_complex_numIdElPKPS3_EEvT1_S7_T2_lS7_lPKT0_lS8_lS7_l
		.amdhsa_group_segment_fixed_size 49152
		.amdhsa_private_segment_fixed_size 0
		.amdhsa_kernarg_size 96
		.amdhsa_user_sgpr_count 6
		.amdhsa_user_sgpr_private_segment_buffer 1
		.amdhsa_user_sgpr_dispatch_ptr 0
		.amdhsa_user_sgpr_queue_ptr 0
		.amdhsa_user_sgpr_kernarg_segment_ptr 1
		.amdhsa_user_sgpr_dispatch_id 0
		.amdhsa_user_sgpr_flat_scratch_init 0
		.amdhsa_user_sgpr_private_segment_size 0
		.amdhsa_uses_dynamic_stack 0
		.amdhsa_system_sgpr_private_segment_wavefront_offset 0
		.amdhsa_system_sgpr_workgroup_id_x 1
		.amdhsa_system_sgpr_workgroup_id_y 1
		.amdhsa_system_sgpr_workgroup_id_z 0
		.amdhsa_system_sgpr_workgroup_info 0
		.amdhsa_system_vgpr_workitem_id 0
		.amdhsa_next_free_vgpr 49
		.amdhsa_next_free_sgpr 98
		.amdhsa_reserve_vcc 1
		.amdhsa_reserve_flat_scratch 0
		.amdhsa_float_round_mode_32 0
		.amdhsa_float_round_mode_16_64 0
		.amdhsa_float_denorm_mode_32 3
		.amdhsa_float_denorm_mode_16_64 3
		.amdhsa_dx10_clamp 1
		.amdhsa_ieee_mode 1
		.amdhsa_fp16_overflow 0
		.amdhsa_exception_fp_ieee_invalid_op 0
		.amdhsa_exception_fp_denorm_src 0
		.amdhsa_exception_fp_ieee_div_zero 0
		.amdhsa_exception_fp_ieee_overflow 0
		.amdhsa_exception_fp_ieee_underflow 0
		.amdhsa_exception_fp_ieee_inexact 0
		.amdhsa_exception_int_div_zero 0
	.end_amdhsa_kernel
	.section	.text._ZN9rocsolver6v33100L22larf_left_kernel_smallILi1024E19rocblas_complex_numIdElPKPS3_EEvT1_S7_T2_lS7_lPKT0_lS8_lS7_l,"axG",@progbits,_ZN9rocsolver6v33100L22larf_left_kernel_smallILi1024E19rocblas_complex_numIdElPKPS3_EEvT1_S7_T2_lS7_lPKT0_lS8_lS7_l,comdat
.Lfunc_end34:
	.size	_ZN9rocsolver6v33100L22larf_left_kernel_smallILi1024E19rocblas_complex_numIdElPKPS3_EEvT1_S7_T2_lS7_lPKT0_lS8_lS7_l, .Lfunc_end34-_ZN9rocsolver6v33100L22larf_left_kernel_smallILi1024E19rocblas_complex_numIdElPKPS3_EEvT1_S7_T2_lS7_lPKT0_lS8_lS7_l
                                        ; -- End function
	.set _ZN9rocsolver6v33100L22larf_left_kernel_smallILi1024E19rocblas_complex_numIdElPKPS3_EEvT1_S7_T2_lS7_lPKT0_lS8_lS7_l.num_vgpr, 30
	.set _ZN9rocsolver6v33100L22larf_left_kernel_smallILi1024E19rocblas_complex_numIdElPKPS3_EEvT1_S7_T2_lS7_lPKT0_lS8_lS7_l.num_agpr, 0
	.set _ZN9rocsolver6v33100L22larf_left_kernel_smallILi1024E19rocblas_complex_numIdElPKPS3_EEvT1_S7_T2_lS7_lPKT0_lS8_lS7_l.numbered_sgpr, 32
	.set _ZN9rocsolver6v33100L22larf_left_kernel_smallILi1024E19rocblas_complex_numIdElPKPS3_EEvT1_S7_T2_lS7_lPKT0_lS8_lS7_l.num_named_barrier, 0
	.set _ZN9rocsolver6v33100L22larf_left_kernel_smallILi1024E19rocblas_complex_numIdElPKPS3_EEvT1_S7_T2_lS7_lPKT0_lS8_lS7_l.private_seg_size, 0
	.set _ZN9rocsolver6v33100L22larf_left_kernel_smallILi1024E19rocblas_complex_numIdElPKPS3_EEvT1_S7_T2_lS7_lPKT0_lS8_lS7_l.uses_vcc, 1
	.set _ZN9rocsolver6v33100L22larf_left_kernel_smallILi1024E19rocblas_complex_numIdElPKPS3_EEvT1_S7_T2_lS7_lPKT0_lS8_lS7_l.uses_flat_scratch, 0
	.set _ZN9rocsolver6v33100L22larf_left_kernel_smallILi1024E19rocblas_complex_numIdElPKPS3_EEvT1_S7_T2_lS7_lPKT0_lS8_lS7_l.has_dyn_sized_stack, 0
	.set _ZN9rocsolver6v33100L22larf_left_kernel_smallILi1024E19rocblas_complex_numIdElPKPS3_EEvT1_S7_T2_lS7_lPKT0_lS8_lS7_l.has_recursion, 0
	.set _ZN9rocsolver6v33100L22larf_left_kernel_smallILi1024E19rocblas_complex_numIdElPKPS3_EEvT1_S7_T2_lS7_lPKT0_lS8_lS7_l.has_indirect_call, 0
	.section	.AMDGPU.csdata,"",@progbits
; Kernel info:
; codeLenInByte = 1968
; TotalNumSgprs: 36
; NumVgprs: 30
; ScratchSize: 0
; MemoryBound: 0
; FloatMode: 240
; IeeeMode: 1
; LDSByteSize: 49152 bytes/workgroup (compile time only)
; SGPRBlocks: 12
; VGPRBlocks: 12
; NumSGPRsForWavesPerEU: 102
; NumVGPRsForWavesPerEU: 49
; Occupancy: 4
; WaveLimiterHint : 0
; COMPUTE_PGM_RSRC2:SCRATCH_EN: 0
; COMPUTE_PGM_RSRC2:USER_SGPR: 6
; COMPUTE_PGM_RSRC2:TRAP_HANDLER: 0
; COMPUTE_PGM_RSRC2:TGID_X_EN: 1
; COMPUTE_PGM_RSRC2:TGID_Y_EN: 1
; COMPUTE_PGM_RSRC2:TGID_Z_EN: 0
; COMPUTE_PGM_RSRC2:TIDIG_COMP_CNT: 0
	.section	.text._ZN9rocsolver6v33100L23larf_right_kernel_smallILi64E19rocblas_complex_numIdElPKPS3_EEvT1_S7_T2_lS7_lPKT0_lS8_lS7_l,"axG",@progbits,_ZN9rocsolver6v33100L23larf_right_kernel_smallILi64E19rocblas_complex_numIdElPKPS3_EEvT1_S7_T2_lS7_lPKT0_lS8_lS7_l,comdat
	.globl	_ZN9rocsolver6v33100L23larf_right_kernel_smallILi64E19rocblas_complex_numIdElPKPS3_EEvT1_S7_T2_lS7_lPKT0_lS8_lS7_l ; -- Begin function _ZN9rocsolver6v33100L23larf_right_kernel_smallILi64E19rocblas_complex_numIdElPKPS3_EEvT1_S7_T2_lS7_lPKT0_lS8_lS7_l
	.p2align	8
	.type	_ZN9rocsolver6v33100L23larf_right_kernel_smallILi64E19rocblas_complex_numIdElPKPS3_EEvT1_S7_T2_lS7_lPKT0_lS8_lS7_l,@function
_ZN9rocsolver6v33100L23larf_right_kernel_smallILi64E19rocblas_complex_numIdElPKPS3_EEvT1_S7_T2_lS7_lPKT0_lS8_lS7_l: ; @_ZN9rocsolver6v33100L23larf_right_kernel_smallILi64E19rocblas_complex_numIdElPKPS3_EEvT1_S7_T2_lS7_lPKT0_lS8_lS7_l
; %bb.0:
	s_mov_b32 s24, s7
	s_load_dwordx8 s[8:15], s[4:5], 0x0
	s_load_dwordx2 s[2:3], s[4:5], 0x20
	s_load_dwordx8 s[16:23], s[4:5], 0x30
	s_load_dwordx2 s[26:27], s[4:5], 0x50
	s_mov_b32 s7, 0
	s_lshl_b64 s[0:1], s[6:7], 3
	s_waitcnt lgkmcnt(0)
	s_add_u32 s28, s12, s0
	s_addc_u32 s29, s13, s1
	v_cmp_gt_i64_e64 s[4:5], s[2:3], 0
	s_add_u32 s0, s20, s0
	s_addc_u32 s1, s21, s1
	s_mov_b64 s[20:21], 0
	s_and_b64 vcc, exec, s[4:5]
	s_cbranch_vccnz .LBB35_2
; %bb.1:
	s_sub_u32 s4, 1, s10
	s_subb_u32 s5, 0, s11
	s_mul_i32 s5, s2, s5
	s_mul_hi_u32 s7, s2, s4
	s_add_i32 s5, s7, s5
	s_mul_i32 s7, s3, s4
	s_add_i32 s21, s5, s7
	s_mul_i32 s20, s2, s4
.LBB35_2:
	s_load_dwordx2 s[4:5], s[0:1], 0x0
	v_mov_b32_e32 v1, 0
	v_cmp_gt_i64_e64 s[0:1], s[10:11], v[0:1]
	v_lshlrev_b32_e32 v14, 4, v0
	s_and_saveexec_b64 s[12:13], s[0:1]
	s_cbranch_execz .LBB35_5
; %bb.3:
	v_mad_u64_u32 v[2:3], s[30:31], s2, v0, 0
	s_load_dwordx2 s[28:29], s[28:29], 0x0
	s_lshl_b64 s[20:21], s[20:21], 4
	v_mad_u64_u32 v[3:4], s[30:31], s3, v0, v[3:4]
	s_lshl_b64 s[14:15], s[14:15], 4
	s_waitcnt lgkmcnt(0)
	s_add_u32 s7, s28, s14
	s_addc_u32 s14, s29, s15
	v_lshlrev_b64 v[2:3], 4, v[2:3]
	s_add_u32 s7, s7, s20
	s_addc_u32 s14, s14, s21
	v_mov_b32_e32 v4, s14
	v_add_co_u32_e32 v2, vcc, s7, v2
	v_addc_co_u32_e32 v3, vcc, v4, v3, vcc
	s_lshl_b64 s[2:3], s[2:3], 10
	v_mov_b32_e32 v5, v1
	v_lshlrev_b32_e32 v6, 4, v0
	s_mov_b64 s[14:15], 0
	v_mov_b32_e32 v7, s3
	v_mov_b32_e32 v4, v0
.LBB35_4:                               ; =>This Inner Loop Header: Depth=1
	flat_load_dwordx4 v[8:11], v[2:3]
	v_add_co_u32_e32 v4, vcc, 64, v4
	v_addc_co_u32_e32 v5, vcc, 0, v5, vcc
	v_add_co_u32_e32 v2, vcc, s2, v2
	v_addc_co_u32_e32 v3, vcc, v3, v7, vcc
	v_cmp_le_i64_e32 vcc, s[10:11], v[4:5]
	s_or_b64 s[14:15], vcc, s[14:15]
	s_waitcnt vmcnt(0) lgkmcnt(0)
	ds_write2_b64 v6, v[8:9], v[10:11] offset1:1
	v_add_u32_e32 v6, 0x400, v6
	s_andn2_b64 exec, exec, s[14:15]
	s_cbranch_execnz .LBB35_4
.LBB35_5:
	s_or_b64 exec, exec, s[12:13]
	s_mov_b32 s25, 0
	v_mov_b32_e32 v2, s24
	v_mov_b32_e32 v3, s25
	v_cmp_le_i64_e32 vcc, s[8:9], v[2:3]
	s_waitcnt lgkmcnt(0)
	; wave barrier
	s_cbranch_vccnz .LBB35_23
; %bb.6:
	s_lshl_b64 s[22:23], s[22:23], 4
	s_add_u32 s20, s4, s22
	s_mul_i32 s2, s19, s6
	s_mul_hi_u32 s3, s18, s6
	v_mad_u64_u32 v[2:3], s[12:13], s26, v0, 0
	s_addc_u32 s21, s5, s23
	s_add_i32 s3, s3, s2
	s_mul_i32 s2, s18, s6
	s_lshl_b64 s[2:3], s[2:3], 4
	s_add_u32 s6, s16, s2
	s_addc_u32 s7, s17, s3
	v_mad_u64_u32 v[3:4], s[16:17], s27, v0, v[3:4]
	s_cmp_gt_i32 s10, 1
	s_cselect_b64 s[12:13], -1, 0
	s_lshl_b32 s18, s26, 6
	s_lshl_b64 s[16:17], s[24:25], 4
	s_add_u32 s4, s4, s16
	v_lshlrev_b64 v[2:3], 4, v[2:3]
	s_addc_u32 s5, s5, s17
	v_mul_lo_u32 v15, v0, s26
	s_add_u32 s4, s4, s22
	s_addc_u32 s5, s5, s23
	v_add_co_u32_e32 v6, vcc, s4, v2
	v_mbcnt_lo_u32_b32 v2, -1, 0
	v_lshrrev_b32_e32 v4, 2, v0
	v_mov_b32_e32 v5, s5
	v_mov_b32_e32 v8, s8
	v_mbcnt_hi_u32_b32 v18, -1, v2
	v_mov_b32_e32 v2, 0x80
	v_cmp_gt_i32_e64 s[2:3], s10, v0
	v_cmp_eq_u32_e64 s[14:15], 0, v0
	v_addc_co_u32_e32 v7, vcc, v5, v3, vcc
	s_lshl_b64 s[16:17], s[26:27], 10
	v_or_b32_e32 v16, 0x8000, v4
	v_mov_b32_e32 v17, 0
	v_mov_b32_e32 v9, s9
	v_and_b32_e32 v19, 63, v18
	v_lshl_or_b32 v20, v18, 2, v2
	s_branch .LBB35_8
.LBB35_7:                               ;   in Loop: Header=BB35_8 Depth=1
	s_or_b64 exec, exec, s[4:5]
	s_add_u32 s24, s24, 64
	s_addc_u32 s25, s25, 0
	v_add_co_u32_e32 v6, vcc, 0x400, v6
	v_cmp_ge_i64_e64 s[4:5], s[24:25], v[8:9]
	v_addc_co_u32_e32 v7, vcc, 0, v7, vcc
	s_and_b64 vcc, exec, s[4:5]
	s_cbranch_vccnz .LBB35_23
.LBB35_8:                               ; =>This Loop Header: Depth=1
                                        ;     Child Loop BB35_10 Depth 2
                                        ;     Child Loop BB35_22 Depth 2
	v_mov_b32_e32 v4, 0
	v_mov_b32_e32 v2, 0
	;; [unrolled: 1-line block ×4, first 2 shown]
	s_and_saveexec_b64 s[4:5], s[2:3]
	s_cbranch_execz .LBB35_12
; %bb.9:                                ;   in Loop: Header=BB35_8 Depth=1
	s_lshl_b64 s[8:9], s[24:25], 4
	s_add_u32 s19, s20, s8
	s_addc_u32 s22, s21, s9
	v_mov_b32_e32 v4, 0
	v_mov_b32_e32 v2, 0
	;; [unrolled: 1-line block ×3, first 2 shown]
	s_mov_b64 s[8:9], 0
	v_mov_b32_e32 v12, s22
	v_mov_b32_e32 v10, v15
	;; [unrolled: 1-line block ×5, first 2 shown]
.LBB35_10:                              ;   Parent Loop BB35_8 Depth=1
                                        ; =>  This Inner Loop Header: Depth=2
	v_ashrrev_i32_e32 v11, 31, v10
	v_lshlrev_b64 v[22:23], 4, v[10:11]
	ds_read_b128 v[26:29], v13
	v_add_co_u32_e32 v22, vcc, s19, v22
	v_addc_co_u32_e32 v23, vcc, v12, v23, vcc
	flat_load_dwordx4 v[22:25], v[22:23]
	v_add_u32_e32 v21, 64, v21
	v_cmp_le_i32_e32 vcc, s10, v21
	v_add_u32_e32 v13, 0x400, v13
	s_or_b64 s[8:9], vcc, s[8:9]
	v_add_u32_e32 v10, s18, v10
	s_waitcnt vmcnt(0) lgkmcnt(0)
	v_mul_f64 v[30:31], v[24:25], v[28:29]
	v_mul_f64 v[28:29], v[22:23], v[28:29]
	v_fma_f64 v[22:23], v[22:23], v[26:27], -v[30:31]
	v_fma_f64 v[24:25], v[24:25], v[26:27], v[28:29]
	v_add_f64 v[2:3], v[2:3], v[22:23]
	v_add_f64 v[4:5], v[4:5], v[24:25]
	s_andn2_b64 exec, exec, s[8:9]
	s_cbranch_execnz .LBB35_10
; %bb.11:                               ;   in Loop: Header=BB35_8 Depth=1
	s_or_b64 exec, exec, s[8:9]
.LBB35_12:                              ;   in Loop: Header=BB35_8 Depth=1
	s_or_b64 exec, exec, s[4:5]
	s_and_b64 vcc, exec, s[12:13]
	s_cbranch_vccz .LBB35_17
; %bb.13:                               ;   in Loop: Header=BB35_8 Depth=1
	v_cmp_ne_u32_e32 vcc, 63, v19
	v_addc_co_u32_e32 v10, vcc, 0, v18, vcc
	v_lshlrev_b32_e32 v13, 2, v10
	ds_bpermute_b32 v10, v13, v2
	ds_bpermute_b32 v11, v13, v3
	;; [unrolled: 1-line block ×4, first 2 shown]
	v_cmp_gt_u32_e32 vcc, 62, v19
	v_cndmask_b32_e64 v21, 0, 2, vcc
	s_waitcnt lgkmcnt(0)
	v_add_f64 v[10:11], v[2:3], v[10:11]
	v_add_lshl_u32 v24, v21, v18, 2
	s_waitcnt lgkmcnt(0)
	v_add_f64 v[12:13], v[4:5], v[12:13]
	v_cmp_gt_u32_e32 vcc, 60, v19
	ds_bpermute_b32 v21, v24, v10
	ds_bpermute_b32 v22, v24, v11
	ds_bpermute_b32 v23, v24, v12
	ds_bpermute_b32 v24, v24, v13
	s_waitcnt lgkmcnt(0)
	v_add_f64 v[10:11], v[10:11], v[21:22]
	v_cndmask_b32_e64 v21, 0, 4, vcc
	s_waitcnt lgkmcnt(0)
	v_add_f64 v[12:13], v[12:13], v[23:24]
	v_add_lshl_u32 v24, v21, v18, 2
	v_cmp_gt_u32_e32 vcc, 56, v19
	ds_bpermute_b32 v21, v24, v10
	ds_bpermute_b32 v22, v24, v11
	ds_bpermute_b32 v23, v24, v12
	ds_bpermute_b32 v24, v24, v13
	s_waitcnt lgkmcnt(0)
	v_add_f64 v[10:11], v[10:11], v[21:22]
	v_cndmask_b32_e64 v21, 0, 8, vcc
	s_waitcnt lgkmcnt(0)
	v_add_f64 v[12:13], v[12:13], v[23:24]
	v_add_lshl_u32 v24, v21, v18, 2
	;; [unrolled: 11-line block ×3, first 2 shown]
	ds_bpermute_b32 v21, v24, v10
	ds_bpermute_b32 v22, v24, v11
	ds_bpermute_b32 v23, v24, v12
	ds_bpermute_b32 v24, v24, v13
	s_waitcnt lgkmcnt(0)
	v_add_f64 v[10:11], v[10:11], v[21:22]
	s_waitcnt lgkmcnt(0)
	v_add_f64 v[12:13], v[12:13], v[23:24]
	ds_bpermute_b32 v21, v20, v10
	ds_bpermute_b32 v22, v20, v11
	;; [unrolled: 1-line block ×4, first 2 shown]
	s_waitcnt lgkmcnt(0)
	v_add_f64 v[10:11], v[10:11], v[21:22]
	s_waitcnt lgkmcnt(0)
	v_add_f64 v[12:13], v[12:13], v[23:24]
	s_and_saveexec_b64 s[4:5], s[14:15]
; %bb.14:                               ;   in Loop: Header=BB35_8 Depth=1
	ds_write2_b64 v16, v[10:11], v[12:13] offset1:1
; %bb.15:                               ;   in Loop: Header=BB35_8 Depth=1
	s_or_b64 exec, exec, s[4:5]
	s_waitcnt lgkmcnt(0)
	; wave barrier
	s_mov_b64 s[4:5], s[14:15]
.LBB35_16:                              ;   in Loop: Header=BB35_8 Depth=1
	v_mov_b32_e32 v4, v12
	v_mov_b32_e32 v2, v10
	;; [unrolled: 1-line block ×4, first 2 shown]
	s_and_saveexec_b64 s[8:9], s[4:5]
	s_cbranch_execnz .LBB35_19
	s_branch .LBB35_20
.LBB35_17:                              ;   in Loop: Header=BB35_8 Depth=1
	s_mov_b64 s[4:5], 0
                                        ; implicit-def: $vgpr12_vgpr13
                                        ; implicit-def: $vgpr10_vgpr11
	s_cbranch_execz .LBB35_16
; %bb.18:                               ;   in Loop: Header=BB35_8 Depth=1
	s_andn2_b64 s[4:5], s[4:5], exec
	s_and_b64 s[8:9], s[14:15], exec
	s_or_b64 s[4:5], s[4:5], s[8:9]
	s_and_saveexec_b64 s[8:9], s[4:5]
.LBB35_19:                              ;   in Loop: Header=BB35_8 Depth=1
	ds_write_b128 v17, v[2:5] offset:32768
.LBB35_20:                              ;   in Loop: Header=BB35_8 Depth=1
	s_or_b64 exec, exec, s[8:9]
	s_waitcnt lgkmcnt(0)
	; wave barrier
	s_and_saveexec_b64 s[4:5], s[0:1]
	s_cbranch_execz .LBB35_7
; %bb.21:                               ;   in Loop: Header=BB35_8 Depth=1
	global_load_dwordx4 v[2:5], v17, s[6:7]
	ds_read_b128 v[10:13], v17 offset:32768
	s_mov_b64 s[8:9], 0
	s_waitcnt vmcnt(0) lgkmcnt(0)
	v_mul_f64 v[21:22], v[2:3], v[10:11]
	v_mul_f64 v[23:24], v[2:3], v[12:13]
	v_fma_f64 v[2:3], v[4:5], v[12:13], -v[21:22]
	v_fma_f64 v[4:5], v[10:11], -v[4:5], -v[23:24]
	v_mov_b32_e32 v11, v7
	v_mov_b32_e32 v13, v1
	;; [unrolled: 1-line block ×5, first 2 shown]
.LBB35_22:                              ;   Parent Loop BB35_8 Depth=1
                                        ; =>  This Inner Loop Header: Depth=2
	flat_load_dwordx4 v[22:25], v[10:11]
	ds_read_b128 v[26:29], v21
	v_add_co_u32_e32 v12, vcc, 64, v12
	v_addc_co_u32_e32 v13, vcc, 0, v13, vcc
	s_waitcnt lgkmcnt(0)
	v_mul_f64 v[30:31], v[4:5], v[28:29]
	v_mul_f64 v[28:29], v[2:3], v[28:29]
	v_cmp_le_i64_e32 vcc, s[10:11], v[12:13]
	v_add_u32_e32 v21, 0x400, v21
	s_or_b64 s[8:9], vcc, s[8:9]
	v_fma_f64 v[30:31], v[2:3], v[26:27], v[30:31]
	v_fma_f64 v[26:27], v[4:5], v[26:27], -v[28:29]
	s_waitcnt vmcnt(0)
	v_add_f64 v[22:23], v[22:23], v[30:31]
	v_add_f64 v[24:25], v[26:27], v[24:25]
	v_mov_b32_e32 v26, s17
	flat_store_dwordx4 v[10:11], v[22:25]
	v_add_co_u32_e32 v10, vcc, s16, v10
	v_addc_co_u32_e32 v11, vcc, v11, v26, vcc
	s_andn2_b64 exec, exec, s[8:9]
	s_cbranch_execnz .LBB35_22
	s_branch .LBB35_7
.LBB35_23:
	s_endpgm
	.section	.rodata,"a",@progbits
	.p2align	6, 0x0
	.amdhsa_kernel _ZN9rocsolver6v33100L23larf_right_kernel_smallILi64E19rocblas_complex_numIdElPKPS3_EEvT1_S7_T2_lS7_lPKT0_lS8_lS7_l
		.amdhsa_group_segment_fixed_size 32784
		.amdhsa_private_segment_fixed_size 0
		.amdhsa_kernarg_size 96
		.amdhsa_user_sgpr_count 6
		.amdhsa_user_sgpr_private_segment_buffer 1
		.amdhsa_user_sgpr_dispatch_ptr 0
		.amdhsa_user_sgpr_queue_ptr 0
		.amdhsa_user_sgpr_kernarg_segment_ptr 1
		.amdhsa_user_sgpr_dispatch_id 0
		.amdhsa_user_sgpr_flat_scratch_init 0
		.amdhsa_user_sgpr_private_segment_size 0
		.amdhsa_uses_dynamic_stack 0
		.amdhsa_system_sgpr_private_segment_wavefront_offset 0
		.amdhsa_system_sgpr_workgroup_id_x 1
		.amdhsa_system_sgpr_workgroup_id_y 1
		.amdhsa_system_sgpr_workgroup_id_z 0
		.amdhsa_system_sgpr_workgroup_info 0
		.amdhsa_system_vgpr_workitem_id 0
		.amdhsa_next_free_vgpr 129
		.amdhsa_next_free_sgpr 98
		.amdhsa_reserve_vcc 1
		.amdhsa_reserve_flat_scratch 0
		.amdhsa_float_round_mode_32 0
		.amdhsa_float_round_mode_16_64 0
		.amdhsa_float_denorm_mode_32 3
		.amdhsa_float_denorm_mode_16_64 3
		.amdhsa_dx10_clamp 1
		.amdhsa_ieee_mode 1
		.amdhsa_fp16_overflow 0
		.amdhsa_exception_fp_ieee_invalid_op 0
		.amdhsa_exception_fp_denorm_src 0
		.amdhsa_exception_fp_ieee_div_zero 0
		.amdhsa_exception_fp_ieee_overflow 0
		.amdhsa_exception_fp_ieee_underflow 0
		.amdhsa_exception_fp_ieee_inexact 0
		.amdhsa_exception_int_div_zero 0
	.end_amdhsa_kernel
	.section	.text._ZN9rocsolver6v33100L23larf_right_kernel_smallILi64E19rocblas_complex_numIdElPKPS3_EEvT1_S7_T2_lS7_lPKT0_lS8_lS7_l,"axG",@progbits,_ZN9rocsolver6v33100L23larf_right_kernel_smallILi64E19rocblas_complex_numIdElPKPS3_EEvT1_S7_T2_lS7_lPKT0_lS8_lS7_l,comdat
.Lfunc_end35:
	.size	_ZN9rocsolver6v33100L23larf_right_kernel_smallILi64E19rocblas_complex_numIdElPKPS3_EEvT1_S7_T2_lS7_lPKT0_lS8_lS7_l, .Lfunc_end35-_ZN9rocsolver6v33100L23larf_right_kernel_smallILi64E19rocblas_complex_numIdElPKPS3_EEvT1_S7_T2_lS7_lPKT0_lS8_lS7_l
                                        ; -- End function
	.set _ZN9rocsolver6v33100L23larf_right_kernel_smallILi64E19rocblas_complex_numIdElPKPS3_EEvT1_S7_T2_lS7_lPKT0_lS8_lS7_l.num_vgpr, 32
	.set _ZN9rocsolver6v33100L23larf_right_kernel_smallILi64E19rocblas_complex_numIdElPKPS3_EEvT1_S7_T2_lS7_lPKT0_lS8_lS7_l.num_agpr, 0
	.set _ZN9rocsolver6v33100L23larf_right_kernel_smallILi64E19rocblas_complex_numIdElPKPS3_EEvT1_S7_T2_lS7_lPKT0_lS8_lS7_l.numbered_sgpr, 32
	.set _ZN9rocsolver6v33100L23larf_right_kernel_smallILi64E19rocblas_complex_numIdElPKPS3_EEvT1_S7_T2_lS7_lPKT0_lS8_lS7_l.num_named_barrier, 0
	.set _ZN9rocsolver6v33100L23larf_right_kernel_smallILi64E19rocblas_complex_numIdElPKPS3_EEvT1_S7_T2_lS7_lPKT0_lS8_lS7_l.private_seg_size, 0
	.set _ZN9rocsolver6v33100L23larf_right_kernel_smallILi64E19rocblas_complex_numIdElPKPS3_EEvT1_S7_T2_lS7_lPKT0_lS8_lS7_l.uses_vcc, 1
	.set _ZN9rocsolver6v33100L23larf_right_kernel_smallILi64E19rocblas_complex_numIdElPKPS3_EEvT1_S7_T2_lS7_lPKT0_lS8_lS7_l.uses_flat_scratch, 0
	.set _ZN9rocsolver6v33100L23larf_right_kernel_smallILi64E19rocblas_complex_numIdElPKPS3_EEvT1_S7_T2_lS7_lPKT0_lS8_lS7_l.has_dyn_sized_stack, 0
	.set _ZN9rocsolver6v33100L23larf_right_kernel_smallILi64E19rocblas_complex_numIdElPKPS3_EEvT1_S7_T2_lS7_lPKT0_lS8_lS7_l.has_recursion, 0
	.set _ZN9rocsolver6v33100L23larf_right_kernel_smallILi64E19rocblas_complex_numIdElPKPS3_EEvT1_S7_T2_lS7_lPKT0_lS8_lS7_l.has_indirect_call, 0
	.section	.AMDGPU.csdata,"",@progbits
; Kernel info:
; codeLenInByte = 1516
; TotalNumSgprs: 36
; NumVgprs: 32
; ScratchSize: 0
; MemoryBound: 0
; FloatMode: 240
; IeeeMode: 1
; LDSByteSize: 32784 bytes/workgroup (compile time only)
; SGPRBlocks: 12
; VGPRBlocks: 32
; NumSGPRsForWavesPerEU: 102
; NumVGPRsForWavesPerEU: 129
; Occupancy: 1
; WaveLimiterHint : 1
; COMPUTE_PGM_RSRC2:SCRATCH_EN: 0
; COMPUTE_PGM_RSRC2:USER_SGPR: 6
; COMPUTE_PGM_RSRC2:TRAP_HANDLER: 0
; COMPUTE_PGM_RSRC2:TGID_X_EN: 1
; COMPUTE_PGM_RSRC2:TGID_Y_EN: 1
; COMPUTE_PGM_RSRC2:TGID_Z_EN: 0
; COMPUTE_PGM_RSRC2:TIDIG_COMP_CNT: 0
	.section	.text._ZN9rocsolver6v33100L23larf_right_kernel_smallILi128E19rocblas_complex_numIdElPKPS3_EEvT1_S7_T2_lS7_lPKT0_lS8_lS7_l,"axG",@progbits,_ZN9rocsolver6v33100L23larf_right_kernel_smallILi128E19rocblas_complex_numIdElPKPS3_EEvT1_S7_T2_lS7_lPKT0_lS8_lS7_l,comdat
	.globl	_ZN9rocsolver6v33100L23larf_right_kernel_smallILi128E19rocblas_complex_numIdElPKPS3_EEvT1_S7_T2_lS7_lPKT0_lS8_lS7_l ; -- Begin function _ZN9rocsolver6v33100L23larf_right_kernel_smallILi128E19rocblas_complex_numIdElPKPS3_EEvT1_S7_T2_lS7_lPKT0_lS8_lS7_l
	.p2align	8
	.type	_ZN9rocsolver6v33100L23larf_right_kernel_smallILi128E19rocblas_complex_numIdElPKPS3_EEvT1_S7_T2_lS7_lPKT0_lS8_lS7_l,@function
_ZN9rocsolver6v33100L23larf_right_kernel_smallILi128E19rocblas_complex_numIdElPKPS3_EEvT1_S7_T2_lS7_lPKT0_lS8_lS7_l: ; @_ZN9rocsolver6v33100L23larf_right_kernel_smallILi128E19rocblas_complex_numIdElPKPS3_EEvT1_S7_T2_lS7_lPKT0_lS8_lS7_l
; %bb.0:
	s_mov_b32 s24, s7
	s_load_dwordx8 s[8:15], s[4:5], 0x0
	s_load_dwordx2 s[2:3], s[4:5], 0x20
	s_load_dwordx8 s[16:23], s[4:5], 0x30
	s_load_dwordx2 s[26:27], s[4:5], 0x50
	s_mov_b32 s7, 0
	s_lshl_b64 s[0:1], s[6:7], 3
	s_waitcnt lgkmcnt(0)
	s_add_u32 s12, s12, s0
	s_addc_u32 s13, s13, s1
	v_cmp_gt_i64_e64 s[4:5], s[2:3], 0
	s_add_u32 s0, s20, s0
	s_addc_u32 s1, s21, s1
	s_mov_b64 s[28:29], 0
	s_and_b64 vcc, exec, s[4:5]
	s_cbranch_vccnz .LBB36_2
; %bb.1:
	s_sub_u32 s4, 1, s10
	s_subb_u32 s5, 0, s11
	s_mul_i32 s5, s2, s5
	s_mul_hi_u32 s7, s2, s4
	s_add_i32 s5, s7, s5
	s_mul_i32 s7, s3, s4
	s_add_i32 s29, s5, s7
	s_mul_i32 s28, s2, s4
.LBB36_2:
	s_load_dwordx2 s[20:21], s[0:1], 0x0
	v_mov_b32_e32 v1, 0
	v_cmp_gt_i64_e64 s[0:1], s[10:11], v[0:1]
	v_lshlrev_b32_e32 v18, 4, v0
	s_and_saveexec_b64 s[4:5], s[0:1]
	s_cbranch_execz .LBB36_5
; %bb.3:
	v_mad_u64_u32 v[2:3], s[30:31], s2, v0, 0
	s_load_dwordx2 s[12:13], s[12:13], 0x0
	s_lshl_b64 s[28:29], s[28:29], 4
	v_mad_u64_u32 v[3:4], s[30:31], s3, v0, v[3:4]
	s_lshl_b64 s[14:15], s[14:15], 4
	s_waitcnt lgkmcnt(0)
	s_add_u32 s7, s12, s14
	s_addc_u32 s12, s13, s15
	v_lshlrev_b64 v[2:3], 4, v[2:3]
	s_add_u32 s7, s7, s28
	s_addc_u32 s12, s12, s29
	v_mov_b32_e32 v4, s12
	v_add_co_u32_e32 v2, vcc, s7, v2
	v_addc_co_u32_e32 v3, vcc, v4, v3, vcc
	s_lshl_b64 s[12:13], s[2:3], 11
	v_mov_b32_e32 v5, v1
	v_lshlrev_b32_e32 v6, 4, v0
	s_mov_b64 s[14:15], 0
	v_mov_b32_e32 v7, s13
	v_mov_b32_e32 v4, v0
.LBB36_4:                               ; =>This Inner Loop Header: Depth=1
	flat_load_dwordx4 v[8:11], v[2:3]
	v_add_co_u32_e32 v4, vcc, 0x80, v4
	v_addc_co_u32_e32 v5, vcc, 0, v5, vcc
	v_cmp_le_i64_e32 vcc, s[10:11], v[4:5]
	v_add_co_u32_e64 v2, s[2:3], s12, v2
	v_addc_co_u32_e64 v3, s[2:3], v3, v7, s[2:3]
	s_or_b64 s[14:15], vcc, s[14:15]
	s_waitcnt vmcnt(0) lgkmcnt(0)
	ds_write2_b64 v6, v[8:9], v[10:11] offset1:1
	v_add_u32_e32 v6, 0x800, v6
	s_andn2_b64 exec, exec, s[14:15]
	s_cbranch_execnz .LBB36_4
.LBB36_5:
	s_or_b64 exec, exec, s[4:5]
	s_mov_b32 s25, 0
	v_mov_b32_e32 v2, s24
	v_mov_b32_e32 v3, s25
	v_cmp_le_i64_e32 vcc, s[8:9], v[2:3]
	s_waitcnt lgkmcnt(0)
	s_barrier
	s_cbranch_vccnz .LBB36_25
; %bb.6:
	s_lshl_b64 s[30:31], s[22:23], 4
	s_add_u32 s22, s20, s30
	s_mul_i32 s2, s19, s6
	s_mul_hi_u32 s3, s18, s6
	v_mad_u64_u32 v[2:3], s[4:5], s26, v0, 0
	s_addc_u32 s23, s21, s31
	s_add_i32 s3, s3, s2
	s_mul_i32 s2, s18, s6
	s_lshl_b64 s[2:3], s[2:3], 4
	s_add_u32 s12, s16, s2
	v_and_b32_e32 v4, 63, v0
	s_addc_u32 s13, s17, s3
	v_cmp_eq_u32_e64 s[4:5], 0, v4
	v_mad_u64_u32 v[3:4], s[6:7], s27, v0, v[3:4]
	s_cmp_gt_i32 s10, 1
	s_cselect_b64 s[14:15], -1, 0
	s_lshl_b32 s28, s26, 7
	s_lshl_b64 s[16:17], s[24:25], 4
	s_add_u32 s16, s20, s16
	v_lshlrev_b64 v[2:3], 4, v[2:3]
	s_addc_u32 s17, s21, s17
	v_mul_lo_u32 v19, v0, s26
	s_add_u32 s16, s16, s30
	s_addc_u32 s17, s17, s31
	v_add_co_u32_e32 v6, vcc, s16, v2
	v_mbcnt_lo_u32_b32 v2, -1, 0
	v_lshrrev_b32_e32 v5, 2, v0
	v_mov_b32_e32 v4, s17
	v_mov_b32_e32 v8, s8
	v_mbcnt_hi_u32_b32 v22, -1, v2
	v_mov_b32_e32 v2, 0x80
	v_cmp_gt_i32_e64 s[2:3], s10, v0
	v_cmp_eq_u32_e64 s[6:7], 0, v0
	v_addc_co_u32_e32 v7, vcc, v4, v3, vcc
	s_lshl_b64 s[16:17], s[26:27], 11
	s_movk_i32 s26, 0x80
	v_or_b32_e32 v20, 0x8000, v5
	v_mov_b32_e32 v21, 0
	v_mov_b32_e32 v9, s9
	v_and_b32_e32 v23, 63, v22
	v_lshl_or_b32 v24, v22, 2, v2
	s_branch .LBB36_8
.LBB36_7:                               ;   in Loop: Header=BB36_8 Depth=1
	s_or_b64 exec, exec, s[8:9]
	s_add_u32 s24, s24, 64
	s_addc_u32 s25, s25, 0
	v_add_co_u32_e32 v6, vcc, 0x400, v6
	v_cmp_ge_i64_e64 s[8:9], s[24:25], v[8:9]
	v_addc_co_u32_e32 v7, vcc, 0, v7, vcc
	s_and_b64 vcc, exec, s[8:9]
	s_cbranch_vccnz .LBB36_25
.LBB36_8:                               ; =>This Loop Header: Depth=1
                                        ;     Child Loop BB36_10 Depth 2
                                        ;     Child Loop BB36_24 Depth 2
	v_mov_b32_e32 v4, 0
	v_mov_b32_e32 v2, 0
	;; [unrolled: 1-line block ×4, first 2 shown]
	s_and_saveexec_b64 s[8:9], s[2:3]
	s_cbranch_execz .LBB36_12
; %bb.9:                                ;   in Loop: Header=BB36_8 Depth=1
	s_lshl_b64 s[18:19], s[24:25], 4
	s_add_u32 s20, s22, s18
	s_addc_u32 s21, s23, s19
	v_mov_b32_e32 v4, 0
	v_mov_b32_e32 v2, 0
	v_mov_b32_e32 v5, 0
	s_mov_b64 s[18:19], 0
	v_mov_b32_e32 v12, s21
	v_mov_b32_e32 v10, v19
	;; [unrolled: 1-line block ×5, first 2 shown]
.LBB36_10:                              ;   Parent Loop BB36_8 Depth=1
                                        ; =>  This Inner Loop Header: Depth=2
	v_ashrrev_i32_e32 v11, 31, v10
	v_lshlrev_b64 v[15:16], 4, v[10:11]
	ds_read_b128 v[29:32], v13
	v_add_co_u32_e32 v15, vcc, s20, v15
	v_addc_co_u32_e32 v16, vcc, v12, v16, vcc
	flat_load_dwordx4 v[25:28], v[15:16]
	v_add_u32_e32 v14, 0x80, v14
	v_cmp_le_i32_e32 vcc, s10, v14
	v_add_u32_e32 v13, 0x800, v13
	s_or_b64 s[18:19], vcc, s[18:19]
	v_add_u32_e32 v10, s28, v10
	s_waitcnt vmcnt(0) lgkmcnt(0)
	v_mul_f64 v[15:16], v[27:28], v[31:32]
	v_mul_f64 v[31:32], v[25:26], v[31:32]
	v_fma_f64 v[15:16], v[25:26], v[29:30], -v[15:16]
	v_fma_f64 v[25:26], v[27:28], v[29:30], v[31:32]
	v_add_f64 v[2:3], v[2:3], v[15:16]
	v_add_f64 v[4:5], v[4:5], v[25:26]
	s_andn2_b64 exec, exec, s[18:19]
	s_cbranch_execnz .LBB36_10
; %bb.11:                               ;   in Loop: Header=BB36_8 Depth=1
	s_or_b64 exec, exec, s[18:19]
.LBB36_12:                              ;   in Loop: Header=BB36_8 Depth=1
	s_or_b64 exec, exec, s[8:9]
	s_and_b64 vcc, exec, s[14:15]
	s_cbranch_vccz .LBB36_19
; %bb.13:                               ;   in Loop: Header=BB36_8 Depth=1
	v_cmp_ne_u32_e32 vcc, 63, v23
	v_addc_co_u32_e32 v10, vcc, 0, v22, vcc
	v_lshlrev_b32_e32 v13, 2, v10
	ds_bpermute_b32 v10, v13, v2
	ds_bpermute_b32 v11, v13, v3
	;; [unrolled: 1-line block ×4, first 2 shown]
	v_cmp_gt_u32_e32 vcc, 62, v23
	v_cndmask_b32_e64 v14, 0, 2, vcc
	s_waitcnt lgkmcnt(0)
	v_add_f64 v[10:11], v[2:3], v[10:11]
	v_add_lshl_u32 v17, v14, v22, 2
	s_waitcnt lgkmcnt(0)
	v_add_f64 v[12:13], v[4:5], v[12:13]
	v_cmp_gt_u32_e32 vcc, 60, v23
	ds_bpermute_b32 v14, v17, v10
	ds_bpermute_b32 v15, v17, v11
	ds_bpermute_b32 v16, v17, v12
	ds_bpermute_b32 v17, v17, v13
	s_waitcnt lgkmcnt(0)
	v_add_f64 v[10:11], v[10:11], v[14:15]
	v_cndmask_b32_e64 v14, 0, 4, vcc
	s_waitcnt lgkmcnt(0)
	v_add_f64 v[12:13], v[12:13], v[16:17]
	v_add_lshl_u32 v17, v14, v22, 2
	v_cmp_gt_u32_e32 vcc, 56, v23
	ds_bpermute_b32 v14, v17, v10
	ds_bpermute_b32 v15, v17, v11
	ds_bpermute_b32 v16, v17, v12
	ds_bpermute_b32 v17, v17, v13
	s_waitcnt lgkmcnt(0)
	v_add_f64 v[10:11], v[10:11], v[14:15]
	v_cndmask_b32_e64 v14, 0, 8, vcc
	s_waitcnt lgkmcnt(0)
	v_add_f64 v[12:13], v[12:13], v[16:17]
	v_add_lshl_u32 v17, v14, v22, 2
	;; [unrolled: 11-line block ×3, first 2 shown]
	ds_bpermute_b32 v14, v17, v10
	ds_bpermute_b32 v15, v17, v11
	;; [unrolled: 1-line block ×4, first 2 shown]
	s_waitcnt lgkmcnt(0)
	v_add_f64 v[10:11], v[10:11], v[14:15]
	s_waitcnt lgkmcnt(0)
	v_add_f64 v[14:15], v[12:13], v[16:17]
	ds_bpermute_b32 v12, v24, v10
	ds_bpermute_b32 v13, v24, v11
	;; [unrolled: 1-line block ×4, first 2 shown]
	s_waitcnt lgkmcnt(0)
	v_add_f64 v[12:13], v[10:11], v[12:13]
	s_waitcnt lgkmcnt(0)
	v_add_f64 v[16:17], v[14:15], v[16:17]
	s_and_saveexec_b64 s[8:9], s[4:5]
; %bb.14:                               ;   in Loop: Header=BB36_8 Depth=1
	ds_write2_b64 v20, v[12:13], v[16:17] offset1:1
; %bb.15:                               ;   in Loop: Header=BB36_8 Depth=1
	s_or_b64 exec, exec, s[8:9]
	s_mov_b64 s[18:19], 0
	s_mov_b64 s[8:9], 0
	s_waitcnt vmcnt(0) lgkmcnt(0)
	s_barrier
                                        ; implicit-def: $vgpr10_vgpr11
                                        ; implicit-def: $vgpr14_vgpr15
	s_and_saveexec_b64 s[20:21], s[6:7]
	s_xor_b64 s[20:21], exec, s[20:21]
	s_cbranch_execz .LBB36_17
; %bb.16:                               ;   in Loop: Header=BB36_8 Depth=1
	ds_read_b128 v[25:28], v21 offset:32784
	s_mov_b64 s[8:9], exec
	s_waitcnt lgkmcnt(0)
	v_add_f64 v[10:11], v[16:17], v[27:28]
	v_add_f64 v[14:15], v[12:13], v[25:26]
.LBB36_17:                              ;   in Loop: Header=BB36_8 Depth=1
	s_or_b64 exec, exec, s[20:21]
	s_and_b64 vcc, exec, s[18:19]
	s_cbranch_vccnz .LBB36_20
.LBB36_18:                              ;   in Loop: Header=BB36_8 Depth=1
	v_mov_b32_e32 v4, v10
	v_mov_b32_e32 v2, v14
	;; [unrolled: 1-line block ×4, first 2 shown]
	s_and_saveexec_b64 s[18:19], s[8:9]
	s_cbranch_execnz .LBB36_21
	s_branch .LBB36_22
.LBB36_19:                              ;   in Loop: Header=BB36_8 Depth=1
	s_mov_b64 s[8:9], 0
                                        ; implicit-def: $vgpr10_vgpr11
                                        ; implicit-def: $vgpr14_vgpr15
	s_cbranch_execz .LBB36_18
.LBB36_20:                              ;   in Loop: Header=BB36_8 Depth=1
	s_andn2_b64 s[8:9], s[8:9], exec
	s_and_b64 s[18:19], s[6:7], exec
	s_or_b64 s[8:9], s[8:9], s[18:19]
	s_and_saveexec_b64 s[18:19], s[8:9]
.LBB36_21:                              ;   in Loop: Header=BB36_8 Depth=1
	ds_write_b128 v21, v[2:5] offset:32768
.LBB36_22:                              ;   in Loop: Header=BB36_8 Depth=1
	s_or_b64 exec, exec, s[18:19]
	s_waitcnt vmcnt(0) lgkmcnt(0)
	s_barrier
	s_and_saveexec_b64 s[8:9], s[0:1]
	s_cbranch_execz .LBB36_7
; %bb.23:                               ;   in Loop: Header=BB36_8 Depth=1
	global_load_dwordx4 v[2:5], v21, s[12:13]
	ds_read_b128 v[10:13], v21 offset:32768
	s_mov_b64 s[18:19], 0
	s_waitcnt vmcnt(0) lgkmcnt(0)
	v_mul_f64 v[14:15], v[2:3], v[10:11]
	v_mul_f64 v[16:17], v[2:3], v[12:13]
	v_fma_f64 v[2:3], v[4:5], v[12:13], -v[14:15]
	v_fma_f64 v[4:5], v[10:11], -v[4:5], -v[16:17]
	v_mov_b32_e32 v11, v7
	v_mov_b32_e32 v13, v1
	;; [unrolled: 1-line block ×5, first 2 shown]
.LBB36_24:                              ;   Parent Loop BB36_8 Depth=1
                                        ; =>  This Inner Loop Header: Depth=2
	flat_load_dwordx4 v[25:28], v[10:11]
	ds_read_b128 v[29:32], v14
	v_add_co_u32_e32 v12, vcc, s26, v12
	v_addc_co_u32_e32 v13, vcc, 0, v13, vcc
	s_waitcnt lgkmcnt(0)
	v_mul_f64 v[15:16], v[4:5], v[31:32]
	v_mul_f64 v[31:32], v[2:3], v[31:32]
	v_cmp_le_i64_e32 vcc, s[10:11], v[12:13]
	v_add_u32_e32 v14, 0x800, v14
	s_or_b64 s[18:19], vcc, s[18:19]
	v_fma_f64 v[15:16], v[2:3], v[29:30], v[15:16]
	v_fma_f64 v[29:30], v[4:5], v[29:30], -v[31:32]
	s_waitcnt vmcnt(0)
	v_add_f64 v[25:26], v[25:26], v[15:16]
	v_add_f64 v[27:28], v[29:30], v[27:28]
	v_mov_b32_e32 v15, s17
	flat_store_dwordx4 v[10:11], v[25:28]
	v_add_co_u32_e32 v10, vcc, s16, v10
	v_addc_co_u32_e32 v11, vcc, v11, v15, vcc
	s_andn2_b64 exec, exec, s[18:19]
	s_cbranch_execnz .LBB36_24
	s_branch .LBB36_7
.LBB36_25:
	s_endpgm
	.section	.rodata,"a",@progbits
	.p2align	6, 0x0
	.amdhsa_kernel _ZN9rocsolver6v33100L23larf_right_kernel_smallILi128E19rocblas_complex_numIdElPKPS3_EEvT1_S7_T2_lS7_lPKT0_lS8_lS7_l
		.amdhsa_group_segment_fixed_size 32800
		.amdhsa_private_segment_fixed_size 0
		.amdhsa_kernarg_size 96
		.amdhsa_user_sgpr_count 6
		.amdhsa_user_sgpr_private_segment_buffer 1
		.amdhsa_user_sgpr_dispatch_ptr 0
		.amdhsa_user_sgpr_queue_ptr 0
		.amdhsa_user_sgpr_kernarg_segment_ptr 1
		.amdhsa_user_sgpr_dispatch_id 0
		.amdhsa_user_sgpr_flat_scratch_init 0
		.amdhsa_user_sgpr_private_segment_size 0
		.amdhsa_uses_dynamic_stack 0
		.amdhsa_system_sgpr_private_segment_wavefront_offset 0
		.amdhsa_system_sgpr_workgroup_id_x 1
		.amdhsa_system_sgpr_workgroup_id_y 1
		.amdhsa_system_sgpr_workgroup_id_z 0
		.amdhsa_system_sgpr_workgroup_info 0
		.amdhsa_system_vgpr_workitem_id 0
		.amdhsa_next_free_vgpr 129
		.amdhsa_next_free_sgpr 98
		.amdhsa_reserve_vcc 1
		.amdhsa_reserve_flat_scratch 0
		.amdhsa_float_round_mode_32 0
		.amdhsa_float_round_mode_16_64 0
		.amdhsa_float_denorm_mode_32 3
		.amdhsa_float_denorm_mode_16_64 3
		.amdhsa_dx10_clamp 1
		.amdhsa_ieee_mode 1
		.amdhsa_fp16_overflow 0
		.amdhsa_exception_fp_ieee_invalid_op 0
		.amdhsa_exception_fp_denorm_src 0
		.amdhsa_exception_fp_ieee_div_zero 0
		.amdhsa_exception_fp_ieee_overflow 0
		.amdhsa_exception_fp_ieee_underflow 0
		.amdhsa_exception_fp_ieee_inexact 0
		.amdhsa_exception_int_div_zero 0
	.end_amdhsa_kernel
	.section	.text._ZN9rocsolver6v33100L23larf_right_kernel_smallILi128E19rocblas_complex_numIdElPKPS3_EEvT1_S7_T2_lS7_lPKT0_lS8_lS7_l,"axG",@progbits,_ZN9rocsolver6v33100L23larf_right_kernel_smallILi128E19rocblas_complex_numIdElPKPS3_EEvT1_S7_T2_lS7_lPKT0_lS8_lS7_l,comdat
.Lfunc_end36:
	.size	_ZN9rocsolver6v33100L23larf_right_kernel_smallILi128E19rocblas_complex_numIdElPKPS3_EEvT1_S7_T2_lS7_lPKT0_lS8_lS7_l, .Lfunc_end36-_ZN9rocsolver6v33100L23larf_right_kernel_smallILi128E19rocblas_complex_numIdElPKPS3_EEvT1_S7_T2_lS7_lPKT0_lS8_lS7_l
                                        ; -- End function
	.set _ZN9rocsolver6v33100L23larf_right_kernel_smallILi128E19rocblas_complex_numIdElPKPS3_EEvT1_S7_T2_lS7_lPKT0_lS8_lS7_l.num_vgpr, 33
	.set _ZN9rocsolver6v33100L23larf_right_kernel_smallILi128E19rocblas_complex_numIdElPKPS3_EEvT1_S7_T2_lS7_lPKT0_lS8_lS7_l.num_agpr, 0
	.set _ZN9rocsolver6v33100L23larf_right_kernel_smallILi128E19rocblas_complex_numIdElPKPS3_EEvT1_S7_T2_lS7_lPKT0_lS8_lS7_l.numbered_sgpr, 32
	.set _ZN9rocsolver6v33100L23larf_right_kernel_smallILi128E19rocblas_complex_numIdElPKPS3_EEvT1_S7_T2_lS7_lPKT0_lS8_lS7_l.num_named_barrier, 0
	.set _ZN9rocsolver6v33100L23larf_right_kernel_smallILi128E19rocblas_complex_numIdElPKPS3_EEvT1_S7_T2_lS7_lPKT0_lS8_lS7_l.private_seg_size, 0
	.set _ZN9rocsolver6v33100L23larf_right_kernel_smallILi128E19rocblas_complex_numIdElPKPS3_EEvT1_S7_T2_lS7_lPKT0_lS8_lS7_l.uses_vcc, 1
	.set _ZN9rocsolver6v33100L23larf_right_kernel_smallILi128E19rocblas_complex_numIdElPKPS3_EEvT1_S7_T2_lS7_lPKT0_lS8_lS7_l.uses_flat_scratch, 0
	.set _ZN9rocsolver6v33100L23larf_right_kernel_smallILi128E19rocblas_complex_numIdElPKPS3_EEvT1_S7_T2_lS7_lPKT0_lS8_lS7_l.has_dyn_sized_stack, 0
	.set _ZN9rocsolver6v33100L23larf_right_kernel_smallILi128E19rocblas_complex_numIdElPKPS3_EEvT1_S7_T2_lS7_lPKT0_lS8_lS7_l.has_recursion, 0
	.set _ZN9rocsolver6v33100L23larf_right_kernel_smallILi128E19rocblas_complex_numIdElPKPS3_EEvT1_S7_T2_lS7_lPKT0_lS8_lS7_l.has_indirect_call, 0
	.section	.AMDGPU.csdata,"",@progbits
; Kernel info:
; codeLenInByte = 1620
; TotalNumSgprs: 36
; NumVgprs: 33
; ScratchSize: 0
; MemoryBound: 0
; FloatMode: 240
; IeeeMode: 1
; LDSByteSize: 32800 bytes/workgroup (compile time only)
; SGPRBlocks: 12
; VGPRBlocks: 32
; NumSGPRsForWavesPerEU: 102
; NumVGPRsForWavesPerEU: 129
; Occupancy: 1
; WaveLimiterHint : 1
; COMPUTE_PGM_RSRC2:SCRATCH_EN: 0
; COMPUTE_PGM_RSRC2:USER_SGPR: 6
; COMPUTE_PGM_RSRC2:TRAP_HANDLER: 0
; COMPUTE_PGM_RSRC2:TGID_X_EN: 1
; COMPUTE_PGM_RSRC2:TGID_Y_EN: 1
; COMPUTE_PGM_RSRC2:TGID_Z_EN: 0
; COMPUTE_PGM_RSRC2:TIDIG_COMP_CNT: 0
	.section	.text._ZN9rocsolver6v33100L23larf_right_kernel_smallILi256E19rocblas_complex_numIdElPKPS3_EEvT1_S7_T2_lS7_lPKT0_lS8_lS7_l,"axG",@progbits,_ZN9rocsolver6v33100L23larf_right_kernel_smallILi256E19rocblas_complex_numIdElPKPS3_EEvT1_S7_T2_lS7_lPKT0_lS8_lS7_l,comdat
	.globl	_ZN9rocsolver6v33100L23larf_right_kernel_smallILi256E19rocblas_complex_numIdElPKPS3_EEvT1_S7_T2_lS7_lPKT0_lS8_lS7_l ; -- Begin function _ZN9rocsolver6v33100L23larf_right_kernel_smallILi256E19rocblas_complex_numIdElPKPS3_EEvT1_S7_T2_lS7_lPKT0_lS8_lS7_l
	.p2align	8
	.type	_ZN9rocsolver6v33100L23larf_right_kernel_smallILi256E19rocblas_complex_numIdElPKPS3_EEvT1_S7_T2_lS7_lPKT0_lS8_lS7_l,@function
_ZN9rocsolver6v33100L23larf_right_kernel_smallILi256E19rocblas_complex_numIdElPKPS3_EEvT1_S7_T2_lS7_lPKT0_lS8_lS7_l: ; @_ZN9rocsolver6v33100L23larf_right_kernel_smallILi256E19rocblas_complex_numIdElPKPS3_EEvT1_S7_T2_lS7_lPKT0_lS8_lS7_l
; %bb.0:
	s_mov_b32 s24, s7
	s_load_dwordx8 s[8:15], s[4:5], 0x0
	s_load_dwordx2 s[2:3], s[4:5], 0x20
	s_load_dwordx8 s[16:23], s[4:5], 0x30
	s_load_dwordx2 s[26:27], s[4:5], 0x50
	s_mov_b32 s7, 0
	s_lshl_b64 s[0:1], s[6:7], 3
	s_waitcnt lgkmcnt(0)
	s_add_u32 s12, s12, s0
	s_addc_u32 s13, s13, s1
	v_cmp_gt_i64_e64 s[4:5], s[2:3], 0
	s_add_u32 s0, s20, s0
	s_addc_u32 s1, s21, s1
	s_mov_b64 s[28:29], 0
	s_and_b64 vcc, exec, s[4:5]
	s_cbranch_vccnz .LBB37_2
; %bb.1:
	s_sub_u32 s4, 1, s10
	s_subb_u32 s5, 0, s11
	s_mul_i32 s5, s2, s5
	s_mul_hi_u32 s7, s2, s4
	s_add_i32 s5, s7, s5
	s_mul_i32 s7, s3, s4
	s_add_i32 s29, s5, s7
	s_mul_i32 s28, s2, s4
.LBB37_2:
	s_load_dwordx2 s[20:21], s[0:1], 0x0
	v_mov_b32_e32 v1, 0
	v_cmp_gt_i64_e64 s[0:1], s[10:11], v[0:1]
	v_lshlrev_b32_e32 v18, 4, v0
	s_and_saveexec_b64 s[4:5], s[0:1]
	s_cbranch_execz .LBB37_5
; %bb.3:
	v_mad_u64_u32 v[2:3], s[30:31], s2, v0, 0
	s_load_dwordx2 s[12:13], s[12:13], 0x0
	s_lshl_b64 s[28:29], s[28:29], 4
	v_mad_u64_u32 v[3:4], s[30:31], s3, v0, v[3:4]
	s_lshl_b64 s[14:15], s[14:15], 4
	s_waitcnt lgkmcnt(0)
	s_add_u32 s7, s12, s14
	s_addc_u32 s12, s13, s15
	v_lshlrev_b64 v[2:3], 4, v[2:3]
	s_add_u32 s7, s7, s28
	s_addc_u32 s12, s12, s29
	v_mov_b32_e32 v4, s12
	v_add_co_u32_e32 v2, vcc, s7, v2
	v_addc_co_u32_e32 v3, vcc, v4, v3, vcc
	s_lshl_b64 s[12:13], s[2:3], 12
	v_mov_b32_e32 v5, v1
	v_lshlrev_b32_e32 v6, 4, v0
	s_mov_b64 s[14:15], 0
	v_mov_b32_e32 v7, s13
	v_mov_b32_e32 v4, v0
.LBB37_4:                               ; =>This Inner Loop Header: Depth=1
	flat_load_dwordx4 v[8:11], v[2:3]
	v_add_co_u32_e32 v4, vcc, 0x100, v4
	v_addc_co_u32_e32 v5, vcc, 0, v5, vcc
	v_cmp_le_i64_e32 vcc, s[10:11], v[4:5]
	v_add_co_u32_e64 v2, s[2:3], s12, v2
	v_addc_co_u32_e64 v3, s[2:3], v3, v7, s[2:3]
	s_or_b64 s[14:15], vcc, s[14:15]
	s_waitcnt vmcnt(0) lgkmcnt(0)
	ds_write2_b64 v6, v[8:9], v[10:11] offset1:1
	v_add_u32_e32 v6, 0x1000, v6
	s_andn2_b64 exec, exec, s[14:15]
	s_cbranch_execnz .LBB37_4
.LBB37_5:
	s_or_b64 exec, exec, s[4:5]
	s_mov_b32 s25, 0
	v_mov_b32_e32 v2, s24
	v_mov_b32_e32 v3, s25
	v_cmp_le_i64_e32 vcc, s[8:9], v[2:3]
	s_waitcnt lgkmcnt(0)
	s_barrier
	s_cbranch_vccnz .LBB37_25
; %bb.6:
	s_lshl_b64 s[30:31], s[22:23], 4
	s_add_u32 s22, s20, s30
	s_mul_i32 s2, s19, s6
	s_mul_hi_u32 s3, s18, s6
	v_mad_u64_u32 v[2:3], s[4:5], s26, v0, 0
	s_addc_u32 s23, s21, s31
	s_add_i32 s3, s3, s2
	s_mul_i32 s2, s18, s6
	s_lshl_b64 s[2:3], s[2:3], 4
	s_add_u32 s12, s16, s2
	v_and_b32_e32 v4, 63, v0
	s_addc_u32 s13, s17, s3
	v_cmp_eq_u32_e64 s[4:5], 0, v4
	v_mad_u64_u32 v[3:4], s[6:7], s27, v0, v[3:4]
	s_cmp_gt_i32 s10, 1
	s_cselect_b64 s[14:15], -1, 0
	s_lshl_b32 s28, s26, 8
	s_lshl_b64 s[16:17], s[24:25], 4
	s_add_u32 s16, s20, s16
	v_lshlrev_b64 v[2:3], 4, v[2:3]
	s_addc_u32 s17, s21, s17
	v_mul_lo_u32 v19, v0, s26
	s_add_u32 s16, s16, s30
	s_addc_u32 s17, s17, s31
	v_add_co_u32_e32 v6, vcc, s16, v2
	v_mbcnt_lo_u32_b32 v2, -1, 0
	v_lshrrev_b32_e32 v5, 2, v0
	v_mov_b32_e32 v4, s17
	v_mov_b32_e32 v8, s8
	v_mbcnt_hi_u32_b32 v22, -1, v2
	v_mov_b32_e32 v2, 0x80
	v_cmp_gt_i32_e64 s[2:3], s10, v0
	v_cmp_eq_u32_e64 s[6:7], 0, v0
	v_addc_co_u32_e32 v7, vcc, v4, v3, vcc
	s_lshl_b64 s[16:17], s[26:27], 12
	s_movk_i32 s26, 0x100
	v_or_b32_e32 v20, 0x8000, v5
	v_mov_b32_e32 v21, 0
	v_mov_b32_e32 v9, s9
	v_and_b32_e32 v23, 63, v22
	v_lshl_or_b32 v24, v22, 2, v2
	s_branch .LBB37_8
.LBB37_7:                               ;   in Loop: Header=BB37_8 Depth=1
	s_or_b64 exec, exec, s[8:9]
	s_add_u32 s24, s24, 64
	s_addc_u32 s25, s25, 0
	v_add_co_u32_e32 v6, vcc, 0x400, v6
	v_cmp_ge_i64_e64 s[8:9], s[24:25], v[8:9]
	v_addc_co_u32_e32 v7, vcc, 0, v7, vcc
	s_and_b64 vcc, exec, s[8:9]
	s_cbranch_vccnz .LBB37_25
.LBB37_8:                               ; =>This Loop Header: Depth=1
                                        ;     Child Loop BB37_10 Depth 2
                                        ;     Child Loop BB37_24 Depth 2
	v_mov_b32_e32 v4, 0
	v_mov_b32_e32 v2, 0
	;; [unrolled: 1-line block ×4, first 2 shown]
	s_and_saveexec_b64 s[8:9], s[2:3]
	s_cbranch_execz .LBB37_12
; %bb.9:                                ;   in Loop: Header=BB37_8 Depth=1
	s_lshl_b64 s[18:19], s[24:25], 4
	s_add_u32 s20, s22, s18
	s_addc_u32 s21, s23, s19
	v_mov_b32_e32 v4, 0
	v_mov_b32_e32 v2, 0
	v_mov_b32_e32 v5, 0
	s_mov_b64 s[18:19], 0
	v_mov_b32_e32 v12, s21
	v_mov_b32_e32 v10, v19
	;; [unrolled: 1-line block ×5, first 2 shown]
.LBB37_10:                              ;   Parent Loop BB37_8 Depth=1
                                        ; =>  This Inner Loop Header: Depth=2
	v_ashrrev_i32_e32 v11, 31, v10
	v_lshlrev_b64 v[15:16], 4, v[10:11]
	ds_read_b128 v[29:32], v13
	v_add_co_u32_e32 v15, vcc, s20, v15
	v_addc_co_u32_e32 v16, vcc, v12, v16, vcc
	flat_load_dwordx4 v[25:28], v[15:16]
	v_add_u32_e32 v14, 0x100, v14
	v_cmp_le_i32_e32 vcc, s10, v14
	v_add_u32_e32 v13, 0x1000, v13
	s_or_b64 s[18:19], vcc, s[18:19]
	v_add_u32_e32 v10, s28, v10
	s_waitcnt vmcnt(0) lgkmcnt(0)
	v_mul_f64 v[15:16], v[27:28], v[31:32]
	v_mul_f64 v[31:32], v[25:26], v[31:32]
	v_fma_f64 v[15:16], v[25:26], v[29:30], -v[15:16]
	v_fma_f64 v[25:26], v[27:28], v[29:30], v[31:32]
	v_add_f64 v[2:3], v[2:3], v[15:16]
	v_add_f64 v[4:5], v[4:5], v[25:26]
	s_andn2_b64 exec, exec, s[18:19]
	s_cbranch_execnz .LBB37_10
; %bb.11:                               ;   in Loop: Header=BB37_8 Depth=1
	s_or_b64 exec, exec, s[18:19]
.LBB37_12:                              ;   in Loop: Header=BB37_8 Depth=1
	s_or_b64 exec, exec, s[8:9]
	s_and_b64 vcc, exec, s[14:15]
	s_cbranch_vccz .LBB37_19
; %bb.13:                               ;   in Loop: Header=BB37_8 Depth=1
	v_cmp_ne_u32_e32 vcc, 63, v23
	v_addc_co_u32_e32 v10, vcc, 0, v22, vcc
	v_lshlrev_b32_e32 v13, 2, v10
	ds_bpermute_b32 v10, v13, v2
	ds_bpermute_b32 v11, v13, v3
	ds_bpermute_b32 v12, v13, v4
	ds_bpermute_b32 v13, v13, v5
	v_cmp_gt_u32_e32 vcc, 62, v23
	v_cndmask_b32_e64 v14, 0, 2, vcc
	s_waitcnt lgkmcnt(0)
	v_add_f64 v[10:11], v[2:3], v[10:11]
	v_add_lshl_u32 v17, v14, v22, 2
	s_waitcnt lgkmcnt(0)
	v_add_f64 v[12:13], v[4:5], v[12:13]
	v_cmp_gt_u32_e32 vcc, 60, v23
	ds_bpermute_b32 v14, v17, v10
	ds_bpermute_b32 v15, v17, v11
	ds_bpermute_b32 v16, v17, v12
	ds_bpermute_b32 v17, v17, v13
	s_waitcnt lgkmcnt(0)
	v_add_f64 v[10:11], v[10:11], v[14:15]
	v_cndmask_b32_e64 v14, 0, 4, vcc
	s_waitcnt lgkmcnt(0)
	v_add_f64 v[12:13], v[12:13], v[16:17]
	v_add_lshl_u32 v17, v14, v22, 2
	v_cmp_gt_u32_e32 vcc, 56, v23
	ds_bpermute_b32 v14, v17, v10
	ds_bpermute_b32 v15, v17, v11
	ds_bpermute_b32 v16, v17, v12
	ds_bpermute_b32 v17, v17, v13
	s_waitcnt lgkmcnt(0)
	v_add_f64 v[10:11], v[10:11], v[14:15]
	v_cndmask_b32_e64 v14, 0, 8, vcc
	s_waitcnt lgkmcnt(0)
	v_add_f64 v[12:13], v[12:13], v[16:17]
	v_add_lshl_u32 v17, v14, v22, 2
	;; [unrolled: 11-line block ×3, first 2 shown]
	ds_bpermute_b32 v14, v17, v10
	ds_bpermute_b32 v15, v17, v11
	;; [unrolled: 1-line block ×4, first 2 shown]
	s_waitcnt lgkmcnt(0)
	v_add_f64 v[10:11], v[10:11], v[14:15]
	s_waitcnt lgkmcnt(0)
	v_add_f64 v[12:13], v[12:13], v[16:17]
	ds_bpermute_b32 v14, v24, v10
	ds_bpermute_b32 v15, v24, v11
	;; [unrolled: 1-line block ×4, first 2 shown]
	s_waitcnt lgkmcnt(0)
	v_add_f64 v[10:11], v[10:11], v[14:15]
	s_waitcnt lgkmcnt(0)
	v_add_f64 v[12:13], v[12:13], v[16:17]
	s_and_saveexec_b64 s[8:9], s[4:5]
; %bb.14:                               ;   in Loop: Header=BB37_8 Depth=1
	ds_write2_b64 v20, v[10:11], v[12:13] offset1:1
; %bb.15:                               ;   in Loop: Header=BB37_8 Depth=1
	s_or_b64 exec, exec, s[8:9]
	s_mov_b64 s[18:19], 0
	s_mov_b64 s[8:9], 0
	s_waitcnt vmcnt(0) lgkmcnt(0)
	s_barrier
                                        ; implicit-def: $vgpr14_vgpr15
                                        ; implicit-def: $vgpr16_vgpr17
	s_and_saveexec_b64 s[20:21], s[6:7]
	s_xor_b64 s[20:21], exec, s[20:21]
	s_cbranch_execz .LBB37_17
; %bb.16:                               ;   in Loop: Header=BB37_8 Depth=1
	ds_read_b128 v[14:17], v21 offset:32784
	ds_read_b128 v[25:28], v21 offset:32800
	s_mov_b64 s[8:9], exec
	s_waitcnt lgkmcnt(1)
	v_add_f64 v[10:11], v[10:11], v[14:15]
	v_add_f64 v[12:13], v[12:13], v[16:17]
	s_waitcnt lgkmcnt(0)
	v_add_f64 v[14:15], v[10:11], v[25:26]
	v_add_f64 v[25:26], v[12:13], v[27:28]
	ds_read_b128 v[10:13], v21 offset:32816
	s_waitcnt lgkmcnt(0)
	v_add_f64 v[16:17], v[14:15], v[10:11]
	v_add_f64 v[14:15], v[25:26], v[12:13]
.LBB37_17:                              ;   in Loop: Header=BB37_8 Depth=1
	s_or_b64 exec, exec, s[20:21]
	s_and_b64 vcc, exec, s[18:19]
	s_cbranch_vccnz .LBB37_20
.LBB37_18:                              ;   in Loop: Header=BB37_8 Depth=1
	v_mov_b32_e32 v4, v14
	v_mov_b32_e32 v2, v16
	;; [unrolled: 1-line block ×4, first 2 shown]
	s_and_saveexec_b64 s[18:19], s[8:9]
	s_cbranch_execnz .LBB37_21
	s_branch .LBB37_22
.LBB37_19:                              ;   in Loop: Header=BB37_8 Depth=1
	s_mov_b64 s[8:9], 0
                                        ; implicit-def: $vgpr14_vgpr15
                                        ; implicit-def: $vgpr16_vgpr17
	s_cbranch_execz .LBB37_18
.LBB37_20:                              ;   in Loop: Header=BB37_8 Depth=1
	s_andn2_b64 s[8:9], s[8:9], exec
	s_and_b64 s[18:19], s[6:7], exec
	s_or_b64 s[8:9], s[8:9], s[18:19]
	s_and_saveexec_b64 s[18:19], s[8:9]
.LBB37_21:                              ;   in Loop: Header=BB37_8 Depth=1
	ds_write_b128 v21, v[2:5] offset:32768
.LBB37_22:                              ;   in Loop: Header=BB37_8 Depth=1
	s_or_b64 exec, exec, s[18:19]
	s_waitcnt vmcnt(0) lgkmcnt(0)
	s_barrier
	s_and_saveexec_b64 s[8:9], s[0:1]
	s_cbranch_execz .LBB37_7
; %bb.23:                               ;   in Loop: Header=BB37_8 Depth=1
	global_load_dwordx4 v[2:5], v21, s[12:13]
	ds_read_b128 v[10:13], v21 offset:32768
	s_mov_b64 s[18:19], 0
	s_waitcnt vmcnt(0) lgkmcnt(0)
	v_mul_f64 v[14:15], v[2:3], v[10:11]
	v_mul_f64 v[16:17], v[2:3], v[12:13]
	v_fma_f64 v[2:3], v[4:5], v[12:13], -v[14:15]
	v_fma_f64 v[4:5], v[10:11], -v[4:5], -v[16:17]
	v_mov_b32_e32 v11, v7
	v_mov_b32_e32 v13, v1
	;; [unrolled: 1-line block ×5, first 2 shown]
.LBB37_24:                              ;   Parent Loop BB37_8 Depth=1
                                        ; =>  This Inner Loop Header: Depth=2
	flat_load_dwordx4 v[25:28], v[10:11]
	ds_read_b128 v[29:32], v14
	v_add_co_u32_e32 v12, vcc, s26, v12
	v_addc_co_u32_e32 v13, vcc, 0, v13, vcc
	s_waitcnt lgkmcnt(0)
	v_mul_f64 v[15:16], v[4:5], v[31:32]
	v_mul_f64 v[31:32], v[2:3], v[31:32]
	v_cmp_le_i64_e32 vcc, s[10:11], v[12:13]
	v_add_u32_e32 v14, 0x1000, v14
	s_or_b64 s[18:19], vcc, s[18:19]
	v_fma_f64 v[15:16], v[2:3], v[29:30], v[15:16]
	v_fma_f64 v[29:30], v[4:5], v[29:30], -v[31:32]
	s_waitcnt vmcnt(0)
	v_add_f64 v[25:26], v[25:26], v[15:16]
	v_add_f64 v[27:28], v[29:30], v[27:28]
	v_mov_b32_e32 v15, s17
	flat_store_dwordx4 v[10:11], v[25:28]
	v_add_co_u32_e32 v10, vcc, s16, v10
	v_addc_co_u32_e32 v11, vcc, v11, v15, vcc
	s_andn2_b64 exec, exec, s[18:19]
	s_cbranch_execnz .LBB37_24
	s_branch .LBB37_7
.LBB37_25:
	s_endpgm
	.section	.rodata,"a",@progbits
	.p2align	6, 0x0
	.amdhsa_kernel _ZN9rocsolver6v33100L23larf_right_kernel_smallILi256E19rocblas_complex_numIdElPKPS3_EEvT1_S7_T2_lS7_lPKT0_lS8_lS7_l
		.amdhsa_group_segment_fixed_size 32832
		.amdhsa_private_segment_fixed_size 0
		.amdhsa_kernarg_size 96
		.amdhsa_user_sgpr_count 6
		.amdhsa_user_sgpr_private_segment_buffer 1
		.amdhsa_user_sgpr_dispatch_ptr 0
		.amdhsa_user_sgpr_queue_ptr 0
		.amdhsa_user_sgpr_kernarg_segment_ptr 1
		.amdhsa_user_sgpr_dispatch_id 0
		.amdhsa_user_sgpr_flat_scratch_init 0
		.amdhsa_user_sgpr_private_segment_size 0
		.amdhsa_uses_dynamic_stack 0
		.amdhsa_system_sgpr_private_segment_wavefront_offset 0
		.amdhsa_system_sgpr_workgroup_id_x 1
		.amdhsa_system_sgpr_workgroup_id_y 1
		.amdhsa_system_sgpr_workgroup_id_z 0
		.amdhsa_system_sgpr_workgroup_info 0
		.amdhsa_system_vgpr_workitem_id 0
		.amdhsa_next_free_vgpr 129
		.amdhsa_next_free_sgpr 98
		.amdhsa_reserve_vcc 1
		.amdhsa_reserve_flat_scratch 0
		.amdhsa_float_round_mode_32 0
		.amdhsa_float_round_mode_16_64 0
		.amdhsa_float_denorm_mode_32 3
		.amdhsa_float_denorm_mode_16_64 3
		.amdhsa_dx10_clamp 1
		.amdhsa_ieee_mode 1
		.amdhsa_fp16_overflow 0
		.amdhsa_exception_fp_ieee_invalid_op 0
		.amdhsa_exception_fp_denorm_src 0
		.amdhsa_exception_fp_ieee_div_zero 0
		.amdhsa_exception_fp_ieee_overflow 0
		.amdhsa_exception_fp_ieee_underflow 0
		.amdhsa_exception_fp_ieee_inexact 0
		.amdhsa_exception_int_div_zero 0
	.end_amdhsa_kernel
	.section	.text._ZN9rocsolver6v33100L23larf_right_kernel_smallILi256E19rocblas_complex_numIdElPKPS3_EEvT1_S7_T2_lS7_lPKT0_lS8_lS7_l,"axG",@progbits,_ZN9rocsolver6v33100L23larf_right_kernel_smallILi256E19rocblas_complex_numIdElPKPS3_EEvT1_S7_T2_lS7_lPKT0_lS8_lS7_l,comdat
.Lfunc_end37:
	.size	_ZN9rocsolver6v33100L23larf_right_kernel_smallILi256E19rocblas_complex_numIdElPKPS3_EEvT1_S7_T2_lS7_lPKT0_lS8_lS7_l, .Lfunc_end37-_ZN9rocsolver6v33100L23larf_right_kernel_smallILi256E19rocblas_complex_numIdElPKPS3_EEvT1_S7_T2_lS7_lPKT0_lS8_lS7_l
                                        ; -- End function
	.set _ZN9rocsolver6v33100L23larf_right_kernel_smallILi256E19rocblas_complex_numIdElPKPS3_EEvT1_S7_T2_lS7_lPKT0_lS8_lS7_l.num_vgpr, 33
	.set _ZN9rocsolver6v33100L23larf_right_kernel_smallILi256E19rocblas_complex_numIdElPKPS3_EEvT1_S7_T2_lS7_lPKT0_lS8_lS7_l.num_agpr, 0
	.set _ZN9rocsolver6v33100L23larf_right_kernel_smallILi256E19rocblas_complex_numIdElPKPS3_EEvT1_S7_T2_lS7_lPKT0_lS8_lS7_l.numbered_sgpr, 32
	.set _ZN9rocsolver6v33100L23larf_right_kernel_smallILi256E19rocblas_complex_numIdElPKPS3_EEvT1_S7_T2_lS7_lPKT0_lS8_lS7_l.num_named_barrier, 0
	.set _ZN9rocsolver6v33100L23larf_right_kernel_smallILi256E19rocblas_complex_numIdElPKPS3_EEvT1_S7_T2_lS7_lPKT0_lS8_lS7_l.private_seg_size, 0
	.set _ZN9rocsolver6v33100L23larf_right_kernel_smallILi256E19rocblas_complex_numIdElPKPS3_EEvT1_S7_T2_lS7_lPKT0_lS8_lS7_l.uses_vcc, 1
	.set _ZN9rocsolver6v33100L23larf_right_kernel_smallILi256E19rocblas_complex_numIdElPKPS3_EEvT1_S7_T2_lS7_lPKT0_lS8_lS7_l.uses_flat_scratch, 0
	.set _ZN9rocsolver6v33100L23larf_right_kernel_smallILi256E19rocblas_complex_numIdElPKPS3_EEvT1_S7_T2_lS7_lPKT0_lS8_lS7_l.has_dyn_sized_stack, 0
	.set _ZN9rocsolver6v33100L23larf_right_kernel_smallILi256E19rocblas_complex_numIdElPKPS3_EEvT1_S7_T2_lS7_lPKT0_lS8_lS7_l.has_recursion, 0
	.set _ZN9rocsolver6v33100L23larf_right_kernel_smallILi256E19rocblas_complex_numIdElPKPS3_EEvT1_S7_T2_lS7_lPKT0_lS8_lS7_l.has_indirect_call, 0
	.section	.AMDGPU.csdata,"",@progbits
; Kernel info:
; codeLenInByte = 1676
; TotalNumSgprs: 36
; NumVgprs: 33
; ScratchSize: 0
; MemoryBound: 0
; FloatMode: 240
; IeeeMode: 1
; LDSByteSize: 32832 bytes/workgroup (compile time only)
; SGPRBlocks: 12
; VGPRBlocks: 32
; NumSGPRsForWavesPerEU: 102
; NumVGPRsForWavesPerEU: 129
; Occupancy: 1
; WaveLimiterHint : 1
; COMPUTE_PGM_RSRC2:SCRATCH_EN: 0
; COMPUTE_PGM_RSRC2:USER_SGPR: 6
; COMPUTE_PGM_RSRC2:TRAP_HANDLER: 0
; COMPUTE_PGM_RSRC2:TGID_X_EN: 1
; COMPUTE_PGM_RSRC2:TGID_Y_EN: 1
; COMPUTE_PGM_RSRC2:TGID_Z_EN: 0
; COMPUTE_PGM_RSRC2:TIDIG_COMP_CNT: 0
	.section	.text._ZN9rocsolver6v33100L23larf_right_kernel_smallILi512E19rocblas_complex_numIdElPKPS3_EEvT1_S7_T2_lS7_lPKT0_lS8_lS7_l,"axG",@progbits,_ZN9rocsolver6v33100L23larf_right_kernel_smallILi512E19rocblas_complex_numIdElPKPS3_EEvT1_S7_T2_lS7_lPKT0_lS8_lS7_l,comdat
	.globl	_ZN9rocsolver6v33100L23larf_right_kernel_smallILi512E19rocblas_complex_numIdElPKPS3_EEvT1_S7_T2_lS7_lPKT0_lS8_lS7_l ; -- Begin function _ZN9rocsolver6v33100L23larf_right_kernel_smallILi512E19rocblas_complex_numIdElPKPS3_EEvT1_S7_T2_lS7_lPKT0_lS8_lS7_l
	.p2align	8
	.type	_ZN9rocsolver6v33100L23larf_right_kernel_smallILi512E19rocblas_complex_numIdElPKPS3_EEvT1_S7_T2_lS7_lPKT0_lS8_lS7_l,@function
_ZN9rocsolver6v33100L23larf_right_kernel_smallILi512E19rocblas_complex_numIdElPKPS3_EEvT1_S7_T2_lS7_lPKT0_lS8_lS7_l: ; @_ZN9rocsolver6v33100L23larf_right_kernel_smallILi512E19rocblas_complex_numIdElPKPS3_EEvT1_S7_T2_lS7_lPKT0_lS8_lS7_l
; %bb.0:
	s_mov_b32 s10, s7
	s_load_dwordx8 s[12:19], s[4:5], 0x0
	s_load_dwordx2 s[2:3], s[4:5], 0x20
	s_load_dwordx8 s[20:27], s[4:5], 0x30
	s_load_dwordx2 s[8:9], s[4:5], 0x50
	s_mov_b32 s7, 0
	s_lshl_b64 s[0:1], s[6:7], 3
	s_waitcnt lgkmcnt(0)
	s_add_u32 s16, s16, s0
	s_addc_u32 s17, s17, s1
	v_cmp_gt_i64_e64 s[4:5], s[2:3], 0
	s_add_u32 s0, s24, s0
	s_addc_u32 s1, s25, s1
	s_mov_b64 s[28:29], 0
	s_and_b64 vcc, exec, s[4:5]
	s_cbranch_vccnz .LBB38_2
; %bb.1:
	s_sub_u32 s4, 1, s14
	s_subb_u32 s5, 0, s15
	s_mul_i32 s5, s2, s5
	s_mul_hi_u32 s7, s2, s4
	s_add_i32 s5, s7, s5
	s_mul_i32 s7, s3, s4
	s_add_i32 s29, s5, s7
	s_mul_i32 s28, s2, s4
.LBB38_2:
	s_load_dwordx2 s[24:25], s[0:1], 0x0
	v_mov_b32_e32 v1, 0
	v_cmp_gt_i64_e64 s[0:1], s[14:15], v[0:1]
	v_lshlrev_b32_e32 v16, 4, v0
	s_and_saveexec_b64 s[4:5], s[0:1]
	s_cbranch_execz .LBB38_5
; %bb.3:
	v_mad_u64_u32 v[2:3], s[30:31], s2, v0, 0
	s_load_dwordx2 s[16:17], s[16:17], 0x0
	s_lshl_b64 s[28:29], s[28:29], 4
	v_mad_u64_u32 v[3:4], s[30:31], s3, v0, v[3:4]
	s_lshl_b64 s[18:19], s[18:19], 4
	s_waitcnt lgkmcnt(0)
	s_add_u32 s7, s16, s18
	s_addc_u32 s11, s17, s19
	v_lshlrev_b64 v[2:3], 4, v[2:3]
	s_add_u32 s7, s7, s28
	s_addc_u32 s11, s11, s29
	v_mov_b32_e32 v4, s11
	v_add_co_u32_e32 v2, vcc, s7, v2
	v_addc_co_u32_e32 v3, vcc, v4, v3, vcc
	s_lshl_b64 s[16:17], s[2:3], 13
	v_mov_b32_e32 v5, v1
	v_lshlrev_b32_e32 v6, 4, v0
	s_mov_b64 s[18:19], 0
	v_mov_b32_e32 v7, s17
	v_mov_b32_e32 v4, v0
.LBB38_4:                               ; =>This Inner Loop Header: Depth=1
	flat_load_dwordx4 v[8:11], v[2:3]
	v_add_co_u32_e32 v4, vcc, 0x200, v4
	v_addc_co_u32_e32 v5, vcc, 0, v5, vcc
	v_cmp_le_i64_e32 vcc, s[14:15], v[4:5]
	v_add_co_u32_e64 v2, s[2:3], s16, v2
	v_addc_co_u32_e64 v3, s[2:3], v3, v7, s[2:3]
	s_or_b64 s[18:19], vcc, s[18:19]
	s_waitcnt vmcnt(0) lgkmcnt(0)
	ds_write2_b64 v6, v[8:9], v[10:11] offset1:1
	v_add_u32_e32 v6, 0x2000, v6
	s_andn2_b64 exec, exec, s[18:19]
	s_cbranch_execnz .LBB38_4
.LBB38_5:
	s_or_b64 exec, exec, s[4:5]
	s_mov_b32 s11, 0
	v_mov_b32_e32 v2, s10
	v_mov_b32_e32 v3, s11
	v_cmp_le_i64_e32 vcc, s[12:13], v[2:3]
	s_waitcnt lgkmcnt(0)
	s_barrier
	s_cbranch_vccnz .LBB38_25
; %bb.6:
	s_lshl_b64 s[30:31], s[26:27], 4
	s_add_u32 s26, s24, s30
	s_mul_i32 s2, s23, s6
	s_mul_hi_u32 s3, s22, s6
	v_mad_u64_u32 v[2:3], s[4:5], s8, v0, 0
	s_addc_u32 s27, s25, s31
	s_add_i32 s3, s3, s2
	s_mul_i32 s2, s22, s6
	s_lshl_b64 s[2:3], s[2:3], 4
	s_add_u32 s16, s20, s2
	v_and_b32_e32 v4, 63, v0
	s_addc_u32 s17, s21, s3
	v_cmp_eq_u32_e64 s[4:5], 0, v4
	v_mad_u64_u32 v[3:4], s[6:7], s9, v0, v[3:4]
	s_cmp_gt_i32 s14, 1
	s_cselect_b64 s[18:19], -1, 0
	s_lshl_b32 s28, s8, 9
	s_lshl_b64 s[20:21], s[10:11], 4
	s_add_u32 s20, s24, s20
	v_lshlrev_b64 v[2:3], 4, v[2:3]
	s_addc_u32 s21, s25, s21
	v_mul_lo_u32 v17, v0, s8
	s_add_u32 s20, s20, s30
	s_addc_u32 s21, s21, s31
	v_add_co_u32_e32 v6, vcc, s20, v2
	v_mbcnt_lo_u32_b32 v2, -1, 0
	v_lshrrev_b32_e32 v5, 2, v0
	v_mov_b32_e32 v4, s21
	v_mbcnt_hi_u32_b32 v20, -1, v2
	v_mov_b32_e32 v2, 0x80
	v_cmp_gt_i32_e64 s[2:3], s14, v0
	v_cmp_eq_u32_e64 s[6:7], 0, v0
	v_addc_co_u32_e32 v7, vcc, v4, v3, vcc
	s_lshl_b64 s[20:21], s[8:9], 13
	s_movk_i32 s29, 0x200
	v_or_b32_e32 v18, 0x8000, v5
	v_mov_b32_e32 v19, 0
	v_and_b32_e32 v21, 63, v20
	v_lshl_or_b32 v22, v20, 2, v2
	s_branch .LBB38_8
.LBB38_7:                               ;   in Loop: Header=BB38_8 Depth=1
	s_or_b64 exec, exec, s[8:9]
	s_add_u32 s10, s10, 64
	v_mov_b32_e32 v2, s12
	s_addc_u32 s11, s11, 0
	v_mov_b32_e32 v3, s13
	v_add_co_u32_e32 v6, vcc, 0x400, v6
	v_cmp_ge_i64_e64 s[8:9], s[10:11], v[2:3]
	v_addc_co_u32_e32 v7, vcc, 0, v7, vcc
	s_and_b64 vcc, exec, s[8:9]
	s_cbranch_vccnz .LBB38_25
.LBB38_8:                               ; =>This Loop Header: Depth=1
                                        ;     Child Loop BB38_10 Depth 2
                                        ;     Child Loop BB38_24 Depth 2
	v_mov_b32_e32 v4, 0
	v_mov_b32_e32 v2, 0
	v_mov_b32_e32 v5, 0
	v_mov_b32_e32 v3, 0
	s_and_saveexec_b64 s[8:9], s[2:3]
	s_cbranch_execz .LBB38_12
; %bb.9:                                ;   in Loop: Header=BB38_8 Depth=1
	s_lshl_b64 s[22:23], s[10:11], 4
	s_add_u32 s24, s26, s22
	s_addc_u32 s25, s27, s23
	v_mov_b32_e32 v4, 0
	v_mov_b32_e32 v2, 0
	;; [unrolled: 1-line block ×3, first 2 shown]
	s_mov_b64 s[22:23], 0
	v_mov_b32_e32 v10, s25
	v_mov_b32_e32 v8, v17
	v_mov_b32_e32 v11, v16
	v_mov_b32_e32 v3, 0
	v_mov_b32_e32 v12, v0
.LBB38_10:                              ;   Parent Loop BB38_8 Depth=1
                                        ; =>  This Inner Loop Header: Depth=2
	v_ashrrev_i32_e32 v9, 31, v8
	v_lshlrev_b64 v[13:14], 4, v[8:9]
	ds_read_b128 v[27:30], v11
	v_add_co_u32_e32 v13, vcc, s24, v13
	v_addc_co_u32_e32 v14, vcc, v10, v14, vcc
	flat_load_dwordx4 v[23:26], v[13:14]
	v_add_u32_e32 v12, 0x200, v12
	v_cmp_le_i32_e32 vcc, s14, v12
	v_add_u32_e32 v11, 0x2000, v11
	s_or_b64 s[22:23], vcc, s[22:23]
	v_add_u32_e32 v8, s28, v8
	s_waitcnt vmcnt(0) lgkmcnt(0)
	v_mul_f64 v[13:14], v[25:26], v[29:30]
	v_mul_f64 v[29:30], v[23:24], v[29:30]
	v_fma_f64 v[13:14], v[23:24], v[27:28], -v[13:14]
	v_fma_f64 v[23:24], v[25:26], v[27:28], v[29:30]
	v_add_f64 v[2:3], v[2:3], v[13:14]
	v_add_f64 v[4:5], v[4:5], v[23:24]
	s_andn2_b64 exec, exec, s[22:23]
	s_cbranch_execnz .LBB38_10
; %bb.11:                               ;   in Loop: Header=BB38_8 Depth=1
	s_or_b64 exec, exec, s[22:23]
.LBB38_12:                              ;   in Loop: Header=BB38_8 Depth=1
	s_or_b64 exec, exec, s[8:9]
	s_and_b64 vcc, exec, s[18:19]
	s_cbranch_vccz .LBB38_19
; %bb.13:                               ;   in Loop: Header=BB38_8 Depth=1
	v_cmp_ne_u32_e32 vcc, 63, v21
	v_addc_co_u32_e32 v8, vcc, 0, v20, vcc
	v_lshlrev_b32_e32 v11, 2, v8
	ds_bpermute_b32 v8, v11, v2
	ds_bpermute_b32 v9, v11, v3
	ds_bpermute_b32 v10, v11, v4
	ds_bpermute_b32 v11, v11, v5
	v_cmp_gt_u32_e32 vcc, 62, v21
	v_cndmask_b32_e64 v12, 0, 2, vcc
	s_waitcnt lgkmcnt(0)
	v_add_f64 v[8:9], v[2:3], v[8:9]
	v_add_lshl_u32 v15, v12, v20, 2
	s_waitcnt lgkmcnt(0)
	v_add_f64 v[10:11], v[4:5], v[10:11]
	v_cmp_gt_u32_e32 vcc, 60, v21
	ds_bpermute_b32 v12, v15, v8
	ds_bpermute_b32 v13, v15, v9
	ds_bpermute_b32 v14, v15, v10
	ds_bpermute_b32 v15, v15, v11
	s_waitcnt lgkmcnt(0)
	v_add_f64 v[8:9], v[8:9], v[12:13]
	v_cndmask_b32_e64 v12, 0, 4, vcc
	s_waitcnt lgkmcnt(0)
	v_add_f64 v[10:11], v[10:11], v[14:15]
	v_add_lshl_u32 v15, v12, v20, 2
	v_cmp_gt_u32_e32 vcc, 56, v21
	ds_bpermute_b32 v12, v15, v8
	ds_bpermute_b32 v13, v15, v9
	ds_bpermute_b32 v14, v15, v10
	ds_bpermute_b32 v15, v15, v11
	s_waitcnt lgkmcnt(0)
	v_add_f64 v[8:9], v[8:9], v[12:13]
	v_cndmask_b32_e64 v12, 0, 8, vcc
	s_waitcnt lgkmcnt(0)
	v_add_f64 v[10:11], v[10:11], v[14:15]
	v_add_lshl_u32 v15, v12, v20, 2
	;; [unrolled: 11-line block ×3, first 2 shown]
	ds_bpermute_b32 v12, v15, v8
	ds_bpermute_b32 v13, v15, v9
	;; [unrolled: 1-line block ×4, first 2 shown]
	s_waitcnt lgkmcnt(0)
	v_add_f64 v[8:9], v[8:9], v[12:13]
	s_waitcnt lgkmcnt(0)
	v_add_f64 v[10:11], v[10:11], v[14:15]
	ds_bpermute_b32 v12, v22, v8
	ds_bpermute_b32 v13, v22, v9
	;; [unrolled: 1-line block ×4, first 2 shown]
	s_waitcnt lgkmcnt(0)
	v_add_f64 v[8:9], v[8:9], v[12:13]
	s_waitcnt lgkmcnt(0)
	v_add_f64 v[10:11], v[10:11], v[14:15]
	s_and_saveexec_b64 s[8:9], s[4:5]
; %bb.14:                               ;   in Loop: Header=BB38_8 Depth=1
	ds_write2_b64 v18, v[8:9], v[10:11] offset1:1
; %bb.15:                               ;   in Loop: Header=BB38_8 Depth=1
	s_or_b64 exec, exec, s[8:9]
	s_mov_b64 s[22:23], 0
	s_mov_b64 s[8:9], 0
	s_waitcnt vmcnt(0) lgkmcnt(0)
	s_barrier
                                        ; implicit-def: $vgpr12_vgpr13
                                        ; implicit-def: $vgpr14_vgpr15
	s_and_saveexec_b64 s[24:25], s[6:7]
	s_xor_b64 s[24:25], exec, s[24:25]
	s_cbranch_execz .LBB38_17
; %bb.16:                               ;   in Loop: Header=BB38_8 Depth=1
	ds_read_b128 v[12:15], v19 offset:32784
	ds_read_b128 v[23:26], v19 offset:32800
	s_mov_b64 s[8:9], exec
	s_waitcnt lgkmcnt(1)
	v_add_f64 v[8:9], v[8:9], v[12:13]
	v_add_f64 v[10:11], v[10:11], v[14:15]
	s_waitcnt lgkmcnt(0)
	v_add_f64 v[23:24], v[8:9], v[23:24]
	v_add_f64 v[25:26], v[10:11], v[25:26]
	ds_read_b128 v[8:11], v19 offset:32816
	ds_read_b128 v[12:15], v19 offset:32832
	s_waitcnt lgkmcnt(1)
	v_add_f64 v[8:9], v[23:24], v[8:9]
	v_add_f64 v[10:11], v[25:26], v[10:11]
	s_waitcnt lgkmcnt(0)
	v_add_f64 v[23:24], v[8:9], v[12:13]
	v_add_f64 v[25:26], v[10:11], v[14:15]
	ds_read_b128 v[8:11], v19 offset:32848
	ds_read_b128 v[12:15], v19 offset:32864
	s_waitcnt lgkmcnt(1)
	v_add_f64 v[8:9], v[23:24], v[8:9]
	v_add_f64 v[10:11], v[25:26], v[10:11]
	s_waitcnt lgkmcnt(0)
	v_add_f64 v[12:13], v[8:9], v[12:13]
	v_add_f64 v[23:24], v[10:11], v[14:15]
	ds_read_b128 v[8:11], v19 offset:32880
	s_waitcnt lgkmcnt(0)
	v_add_f64 v[14:15], v[12:13], v[8:9]
	v_add_f64 v[12:13], v[23:24], v[10:11]
.LBB38_17:                              ;   in Loop: Header=BB38_8 Depth=1
	s_or_b64 exec, exec, s[24:25]
	s_and_b64 vcc, exec, s[22:23]
	s_cbranch_vccnz .LBB38_20
.LBB38_18:                              ;   in Loop: Header=BB38_8 Depth=1
	v_mov_b32_e32 v4, v12
	v_mov_b32_e32 v2, v14
	;; [unrolled: 1-line block ×4, first 2 shown]
	s_and_saveexec_b64 s[22:23], s[8:9]
	s_cbranch_execnz .LBB38_21
	s_branch .LBB38_22
.LBB38_19:                              ;   in Loop: Header=BB38_8 Depth=1
	s_mov_b64 s[8:9], 0
                                        ; implicit-def: $vgpr12_vgpr13
                                        ; implicit-def: $vgpr14_vgpr15
	s_cbranch_execz .LBB38_18
.LBB38_20:                              ;   in Loop: Header=BB38_8 Depth=1
	s_andn2_b64 s[8:9], s[8:9], exec
	s_and_b64 s[22:23], s[6:7], exec
	s_or_b64 s[8:9], s[8:9], s[22:23]
	s_and_saveexec_b64 s[22:23], s[8:9]
.LBB38_21:                              ;   in Loop: Header=BB38_8 Depth=1
	ds_write_b128 v19, v[2:5] offset:32768
.LBB38_22:                              ;   in Loop: Header=BB38_8 Depth=1
	s_or_b64 exec, exec, s[22:23]
	s_waitcnt vmcnt(0) lgkmcnt(0)
	s_barrier
	s_and_saveexec_b64 s[8:9], s[0:1]
	s_cbranch_execz .LBB38_7
; %bb.23:                               ;   in Loop: Header=BB38_8 Depth=1
	global_load_dwordx4 v[2:5], v19, s[16:17]
	ds_read_b128 v[8:11], v19 offset:32768
	s_mov_b64 s[22:23], 0
	s_waitcnt vmcnt(0) lgkmcnt(0)
	v_mul_f64 v[12:13], v[2:3], v[8:9]
	v_mul_f64 v[14:15], v[2:3], v[10:11]
	v_fma_f64 v[2:3], v[4:5], v[10:11], -v[12:13]
	v_fma_f64 v[4:5], v[8:9], -v[4:5], -v[14:15]
	v_mov_b32_e32 v9, v7
	v_mov_b32_e32 v11, v1
	;; [unrolled: 1-line block ×5, first 2 shown]
.LBB38_24:                              ;   Parent Loop BB38_8 Depth=1
                                        ; =>  This Inner Loop Header: Depth=2
	flat_load_dwordx4 v[23:26], v[8:9]
	ds_read_b128 v[27:30], v12
	v_add_co_u32_e32 v10, vcc, s29, v10
	v_addc_co_u32_e32 v11, vcc, 0, v11, vcc
	s_waitcnt lgkmcnt(0)
	v_mul_f64 v[13:14], v[4:5], v[29:30]
	v_mul_f64 v[29:30], v[2:3], v[29:30]
	v_cmp_le_i64_e32 vcc, s[14:15], v[10:11]
	v_add_u32_e32 v12, 0x2000, v12
	s_or_b64 s[22:23], vcc, s[22:23]
	v_fma_f64 v[13:14], v[2:3], v[27:28], v[13:14]
	v_fma_f64 v[27:28], v[4:5], v[27:28], -v[29:30]
	s_waitcnt vmcnt(0)
	v_add_f64 v[23:24], v[23:24], v[13:14]
	v_add_f64 v[25:26], v[27:28], v[25:26]
	v_mov_b32_e32 v13, s21
	flat_store_dwordx4 v[8:9], v[23:26]
	v_add_co_u32_e32 v8, vcc, s20, v8
	v_addc_co_u32_e32 v9, vcc, v9, v13, vcc
	s_andn2_b64 exec, exec, s[22:23]
	s_cbranch_execnz .LBB38_24
	s_branch .LBB38_7
.LBB38_25:
	s_endpgm
	.section	.rodata,"a",@progbits
	.p2align	6, 0x0
	.amdhsa_kernel _ZN9rocsolver6v33100L23larf_right_kernel_smallILi512E19rocblas_complex_numIdElPKPS3_EEvT1_S7_T2_lS7_lPKT0_lS8_lS7_l
		.amdhsa_group_segment_fixed_size 32896
		.amdhsa_private_segment_fixed_size 0
		.amdhsa_kernarg_size 96
		.amdhsa_user_sgpr_count 6
		.amdhsa_user_sgpr_private_segment_buffer 1
		.amdhsa_user_sgpr_dispatch_ptr 0
		.amdhsa_user_sgpr_queue_ptr 0
		.amdhsa_user_sgpr_kernarg_segment_ptr 1
		.amdhsa_user_sgpr_dispatch_id 0
		.amdhsa_user_sgpr_flat_scratch_init 0
		.amdhsa_user_sgpr_private_segment_size 0
		.amdhsa_uses_dynamic_stack 0
		.amdhsa_system_sgpr_private_segment_wavefront_offset 0
		.amdhsa_system_sgpr_workgroup_id_x 1
		.amdhsa_system_sgpr_workgroup_id_y 1
		.amdhsa_system_sgpr_workgroup_id_z 0
		.amdhsa_system_sgpr_workgroup_info 0
		.amdhsa_system_vgpr_workitem_id 0
		.amdhsa_next_free_vgpr 85
		.amdhsa_next_free_sgpr 98
		.amdhsa_reserve_vcc 1
		.amdhsa_reserve_flat_scratch 0
		.amdhsa_float_round_mode_32 0
		.amdhsa_float_round_mode_16_64 0
		.amdhsa_float_denorm_mode_32 3
		.amdhsa_float_denorm_mode_16_64 3
		.amdhsa_dx10_clamp 1
		.amdhsa_ieee_mode 1
		.amdhsa_fp16_overflow 0
		.amdhsa_exception_fp_ieee_invalid_op 0
		.amdhsa_exception_fp_denorm_src 0
		.amdhsa_exception_fp_ieee_div_zero 0
		.amdhsa_exception_fp_ieee_overflow 0
		.amdhsa_exception_fp_ieee_underflow 0
		.amdhsa_exception_fp_ieee_inexact 0
		.amdhsa_exception_int_div_zero 0
	.end_amdhsa_kernel
	.section	.text._ZN9rocsolver6v33100L23larf_right_kernel_smallILi512E19rocblas_complex_numIdElPKPS3_EEvT1_S7_T2_lS7_lPKT0_lS8_lS7_l,"axG",@progbits,_ZN9rocsolver6v33100L23larf_right_kernel_smallILi512E19rocblas_complex_numIdElPKPS3_EEvT1_S7_T2_lS7_lPKT0_lS8_lS7_l,comdat
.Lfunc_end38:
	.size	_ZN9rocsolver6v33100L23larf_right_kernel_smallILi512E19rocblas_complex_numIdElPKPS3_EEvT1_S7_T2_lS7_lPKT0_lS8_lS7_l, .Lfunc_end38-_ZN9rocsolver6v33100L23larf_right_kernel_smallILi512E19rocblas_complex_numIdElPKPS3_EEvT1_S7_T2_lS7_lPKT0_lS8_lS7_l
                                        ; -- End function
	.set _ZN9rocsolver6v33100L23larf_right_kernel_smallILi512E19rocblas_complex_numIdElPKPS3_EEvT1_S7_T2_lS7_lPKT0_lS8_lS7_l.num_vgpr, 31
	.set _ZN9rocsolver6v33100L23larf_right_kernel_smallILi512E19rocblas_complex_numIdElPKPS3_EEvT1_S7_T2_lS7_lPKT0_lS8_lS7_l.num_agpr, 0
	.set _ZN9rocsolver6v33100L23larf_right_kernel_smallILi512E19rocblas_complex_numIdElPKPS3_EEvT1_S7_T2_lS7_lPKT0_lS8_lS7_l.numbered_sgpr, 32
	.set _ZN9rocsolver6v33100L23larf_right_kernel_smallILi512E19rocblas_complex_numIdElPKPS3_EEvT1_S7_T2_lS7_lPKT0_lS8_lS7_l.num_named_barrier, 0
	.set _ZN9rocsolver6v33100L23larf_right_kernel_smallILi512E19rocblas_complex_numIdElPKPS3_EEvT1_S7_T2_lS7_lPKT0_lS8_lS7_l.private_seg_size, 0
	.set _ZN9rocsolver6v33100L23larf_right_kernel_smallILi512E19rocblas_complex_numIdElPKPS3_EEvT1_S7_T2_lS7_lPKT0_lS8_lS7_l.uses_vcc, 1
	.set _ZN9rocsolver6v33100L23larf_right_kernel_smallILi512E19rocblas_complex_numIdElPKPS3_EEvT1_S7_T2_lS7_lPKT0_lS8_lS7_l.uses_flat_scratch, 0
	.set _ZN9rocsolver6v33100L23larf_right_kernel_smallILi512E19rocblas_complex_numIdElPKPS3_EEvT1_S7_T2_lS7_lPKT0_lS8_lS7_l.has_dyn_sized_stack, 0
	.set _ZN9rocsolver6v33100L23larf_right_kernel_smallILi512E19rocblas_complex_numIdElPKPS3_EEvT1_S7_T2_lS7_lPKT0_lS8_lS7_l.has_recursion, 0
	.set _ZN9rocsolver6v33100L23larf_right_kernel_smallILi512E19rocblas_complex_numIdElPKPS3_EEvT1_S7_T2_lS7_lPKT0_lS8_lS7_l.has_indirect_call, 0
	.section	.AMDGPU.csdata,"",@progbits
; Kernel info:
; codeLenInByte = 1788
; TotalNumSgprs: 36
; NumVgprs: 31
; ScratchSize: 0
; MemoryBound: 0
; FloatMode: 240
; IeeeMode: 1
; LDSByteSize: 32896 bytes/workgroup (compile time only)
; SGPRBlocks: 12
; VGPRBlocks: 21
; NumSGPRsForWavesPerEU: 102
; NumVGPRsForWavesPerEU: 85
; Occupancy: 2
; WaveLimiterHint : 1
; COMPUTE_PGM_RSRC2:SCRATCH_EN: 0
; COMPUTE_PGM_RSRC2:USER_SGPR: 6
; COMPUTE_PGM_RSRC2:TRAP_HANDLER: 0
; COMPUTE_PGM_RSRC2:TGID_X_EN: 1
; COMPUTE_PGM_RSRC2:TGID_Y_EN: 1
; COMPUTE_PGM_RSRC2:TGID_Z_EN: 0
; COMPUTE_PGM_RSRC2:TIDIG_COMP_CNT: 0
	.section	.text._ZN9rocsolver6v33100L23larf_right_kernel_smallILi1024E19rocblas_complex_numIdElPKPS3_EEvT1_S7_T2_lS7_lPKT0_lS8_lS7_l,"axG",@progbits,_ZN9rocsolver6v33100L23larf_right_kernel_smallILi1024E19rocblas_complex_numIdElPKPS3_EEvT1_S7_T2_lS7_lPKT0_lS8_lS7_l,comdat
	.globl	_ZN9rocsolver6v33100L23larf_right_kernel_smallILi1024E19rocblas_complex_numIdElPKPS3_EEvT1_S7_T2_lS7_lPKT0_lS8_lS7_l ; -- Begin function _ZN9rocsolver6v33100L23larf_right_kernel_smallILi1024E19rocblas_complex_numIdElPKPS3_EEvT1_S7_T2_lS7_lPKT0_lS8_lS7_l
	.p2align	8
	.type	_ZN9rocsolver6v33100L23larf_right_kernel_smallILi1024E19rocblas_complex_numIdElPKPS3_EEvT1_S7_T2_lS7_lPKT0_lS8_lS7_l,@function
_ZN9rocsolver6v33100L23larf_right_kernel_smallILi1024E19rocblas_complex_numIdElPKPS3_EEvT1_S7_T2_lS7_lPKT0_lS8_lS7_l: ; @_ZN9rocsolver6v33100L23larf_right_kernel_smallILi1024E19rocblas_complex_numIdElPKPS3_EEvT1_S7_T2_lS7_lPKT0_lS8_lS7_l
; %bb.0:
	s_mov_b32 s10, s7
	s_load_dwordx8 s[12:19], s[4:5], 0x0
	s_load_dwordx2 s[2:3], s[4:5], 0x20
	s_load_dwordx8 s[20:27], s[4:5], 0x30
	s_load_dwordx2 s[8:9], s[4:5], 0x50
	s_mov_b32 s7, 0
	s_lshl_b64 s[0:1], s[6:7], 3
	s_waitcnt lgkmcnt(0)
	s_add_u32 s16, s16, s0
	s_addc_u32 s17, s17, s1
	v_cmp_gt_i64_e64 s[4:5], s[2:3], 0
	s_add_u32 s0, s24, s0
	s_addc_u32 s1, s25, s1
	s_mov_b64 s[28:29], 0
	s_and_b64 vcc, exec, s[4:5]
	s_cbranch_vccnz .LBB39_2
; %bb.1:
	s_sub_u32 s4, 1, s14
	s_subb_u32 s5, 0, s15
	s_mul_i32 s5, s2, s5
	s_mul_hi_u32 s7, s2, s4
	s_add_i32 s5, s7, s5
	s_mul_i32 s7, s3, s4
	s_add_i32 s29, s5, s7
	s_mul_i32 s28, s2, s4
.LBB39_2:
	s_load_dwordx2 s[24:25], s[0:1], 0x0
	v_mov_b32_e32 v1, 0
	v_cmp_gt_i64_e64 s[0:1], s[14:15], v[0:1]
	v_lshlrev_b32_e32 v16, 4, v0
	s_and_saveexec_b64 s[4:5], s[0:1]
	s_cbranch_execz .LBB39_5
; %bb.3:
	v_mad_u64_u32 v[2:3], s[30:31], s2, v0, 0
	s_load_dwordx2 s[16:17], s[16:17], 0x0
	s_lshl_b64 s[28:29], s[28:29], 4
	v_mad_u64_u32 v[3:4], s[30:31], s3, v0, v[3:4]
	s_lshl_b64 s[18:19], s[18:19], 4
	s_waitcnt lgkmcnt(0)
	s_add_u32 s7, s16, s18
	s_addc_u32 s11, s17, s19
	v_lshlrev_b64 v[2:3], 4, v[2:3]
	s_add_u32 s7, s7, s28
	s_addc_u32 s11, s11, s29
	v_mov_b32_e32 v4, s11
	v_add_co_u32_e32 v2, vcc, s7, v2
	v_addc_co_u32_e32 v3, vcc, v4, v3, vcc
	s_lshl_b64 s[16:17], s[2:3], 14
	v_mov_b32_e32 v5, v1
	v_lshlrev_b32_e32 v6, 4, v0
	s_mov_b64 s[18:19], 0
	v_mov_b32_e32 v7, s17
	v_mov_b32_e32 v4, v0
.LBB39_4:                               ; =>This Inner Loop Header: Depth=1
	flat_load_dwordx4 v[8:11], v[2:3]
	v_add_co_u32_e32 v4, vcc, 0x400, v4
	v_addc_co_u32_e32 v5, vcc, 0, v5, vcc
	v_cmp_le_i64_e32 vcc, s[14:15], v[4:5]
	v_add_co_u32_e64 v2, s[2:3], s16, v2
	v_addc_co_u32_e64 v3, s[2:3], v3, v7, s[2:3]
	s_or_b64 s[18:19], vcc, s[18:19]
	s_waitcnt vmcnt(0) lgkmcnt(0)
	ds_write2_b64 v6, v[8:9], v[10:11] offset1:1
	v_add_u32_e32 v6, 0x4000, v6
	s_andn2_b64 exec, exec, s[18:19]
	s_cbranch_execnz .LBB39_4
.LBB39_5:
	s_or_b64 exec, exec, s[4:5]
	s_mov_b32 s11, 0
	v_mov_b32_e32 v2, s10
	v_mov_b32_e32 v3, s11
	v_cmp_le_i64_e32 vcc, s[12:13], v[2:3]
	s_waitcnt lgkmcnt(0)
	s_barrier
	s_cbranch_vccnz .LBB39_25
; %bb.6:
	s_lshl_b64 s[30:31], s[26:27], 4
	s_add_u32 s26, s24, s30
	s_mul_i32 s2, s23, s6
	s_mul_hi_u32 s3, s22, s6
	v_mad_u64_u32 v[2:3], s[4:5], s8, v0, 0
	s_addc_u32 s27, s25, s31
	s_add_i32 s3, s3, s2
	s_mul_i32 s2, s22, s6
	s_lshl_b64 s[2:3], s[2:3], 4
	s_add_u32 s16, s20, s2
	v_and_b32_e32 v4, 63, v0
	s_addc_u32 s17, s21, s3
	v_cmp_eq_u32_e64 s[4:5], 0, v4
	v_mad_u64_u32 v[3:4], s[6:7], s9, v0, v[3:4]
	s_cmp_gt_i32 s14, 1
	s_cselect_b64 s[18:19], -1, 0
	s_lshl_b32 s28, s8, 10
	s_lshl_b64 s[20:21], s[10:11], 4
	s_add_u32 s20, s24, s20
	v_lshlrev_b64 v[2:3], 4, v[2:3]
	s_addc_u32 s21, s25, s21
	v_mul_lo_u32 v17, v0, s8
	s_add_u32 s20, s20, s30
	s_addc_u32 s21, s21, s31
	v_add_co_u32_e32 v6, vcc, s20, v2
	v_mbcnt_lo_u32_b32 v2, -1, 0
	v_lshrrev_b32_e32 v5, 2, v0
	v_mov_b32_e32 v4, s21
	v_mbcnt_hi_u32_b32 v20, -1, v2
	v_mov_b32_e32 v2, 0x80
	v_cmp_gt_i32_e64 s[2:3], s14, v0
	v_cmp_eq_u32_e64 s[6:7], 0, v0
	v_addc_co_u32_e32 v7, vcc, v4, v3, vcc
	s_lshl_b64 s[20:21], s[8:9], 14
	s_movk_i32 s29, 0x400
	v_or_b32_e32 v18, 0x8000, v5
	v_mov_b32_e32 v19, 0
	v_and_b32_e32 v21, 63, v20
	v_lshl_or_b32 v22, v20, 2, v2
	s_branch .LBB39_8
.LBB39_7:                               ;   in Loop: Header=BB39_8 Depth=1
	s_or_b64 exec, exec, s[8:9]
	s_add_u32 s10, s10, 64
	v_mov_b32_e32 v2, s12
	s_addc_u32 s11, s11, 0
	v_mov_b32_e32 v3, s13
	v_add_co_u32_e32 v6, vcc, 0x400, v6
	v_cmp_ge_i64_e64 s[8:9], s[10:11], v[2:3]
	v_addc_co_u32_e32 v7, vcc, 0, v7, vcc
	s_and_b64 vcc, exec, s[8:9]
	s_cbranch_vccnz .LBB39_25
.LBB39_8:                               ; =>This Loop Header: Depth=1
                                        ;     Child Loop BB39_10 Depth 2
                                        ;     Child Loop BB39_24 Depth 2
	v_mov_b32_e32 v4, 0
	v_mov_b32_e32 v2, 0
	;; [unrolled: 1-line block ×4, first 2 shown]
	s_and_saveexec_b64 s[8:9], s[2:3]
	s_cbranch_execz .LBB39_12
; %bb.9:                                ;   in Loop: Header=BB39_8 Depth=1
	s_lshl_b64 s[22:23], s[10:11], 4
	s_add_u32 s24, s26, s22
	s_addc_u32 s25, s27, s23
	v_mov_b32_e32 v4, 0
	v_mov_b32_e32 v2, 0
	;; [unrolled: 1-line block ×3, first 2 shown]
	s_mov_b64 s[22:23], 0
	v_mov_b32_e32 v10, s25
	v_mov_b32_e32 v8, v17
	;; [unrolled: 1-line block ×5, first 2 shown]
.LBB39_10:                              ;   Parent Loop BB39_8 Depth=1
                                        ; =>  This Inner Loop Header: Depth=2
	v_ashrrev_i32_e32 v9, 31, v8
	v_lshlrev_b64 v[13:14], 4, v[8:9]
	ds_read_b128 v[27:30], v11
	v_add_co_u32_e32 v13, vcc, s24, v13
	v_addc_co_u32_e32 v14, vcc, v10, v14, vcc
	flat_load_dwordx4 v[23:26], v[13:14]
	v_add_u32_e32 v12, 0x400, v12
	v_cmp_le_i32_e32 vcc, s14, v12
	v_add_u32_e32 v11, 0x4000, v11
	s_or_b64 s[22:23], vcc, s[22:23]
	v_add_u32_e32 v8, s28, v8
	s_waitcnt vmcnt(0) lgkmcnt(0)
	v_mul_f64 v[13:14], v[25:26], v[29:30]
	v_mul_f64 v[29:30], v[23:24], v[29:30]
	v_fma_f64 v[13:14], v[23:24], v[27:28], -v[13:14]
	v_fma_f64 v[23:24], v[25:26], v[27:28], v[29:30]
	v_add_f64 v[2:3], v[2:3], v[13:14]
	v_add_f64 v[4:5], v[4:5], v[23:24]
	s_andn2_b64 exec, exec, s[22:23]
	s_cbranch_execnz .LBB39_10
; %bb.11:                               ;   in Loop: Header=BB39_8 Depth=1
	s_or_b64 exec, exec, s[22:23]
.LBB39_12:                              ;   in Loop: Header=BB39_8 Depth=1
	s_or_b64 exec, exec, s[8:9]
	s_and_b64 vcc, exec, s[18:19]
	s_cbranch_vccz .LBB39_19
; %bb.13:                               ;   in Loop: Header=BB39_8 Depth=1
	v_cmp_ne_u32_e32 vcc, 63, v21
	v_addc_co_u32_e32 v8, vcc, 0, v20, vcc
	v_lshlrev_b32_e32 v11, 2, v8
	ds_bpermute_b32 v8, v11, v2
	ds_bpermute_b32 v9, v11, v3
	;; [unrolled: 1-line block ×4, first 2 shown]
	v_cmp_gt_u32_e32 vcc, 62, v21
	v_cndmask_b32_e64 v12, 0, 2, vcc
	s_waitcnt lgkmcnt(0)
	v_add_f64 v[8:9], v[2:3], v[8:9]
	v_add_lshl_u32 v15, v12, v20, 2
	s_waitcnt lgkmcnt(0)
	v_add_f64 v[10:11], v[4:5], v[10:11]
	v_cmp_gt_u32_e32 vcc, 60, v21
	ds_bpermute_b32 v12, v15, v8
	ds_bpermute_b32 v13, v15, v9
	ds_bpermute_b32 v14, v15, v10
	ds_bpermute_b32 v15, v15, v11
	s_waitcnt lgkmcnt(0)
	v_add_f64 v[8:9], v[8:9], v[12:13]
	v_cndmask_b32_e64 v12, 0, 4, vcc
	s_waitcnt lgkmcnt(0)
	v_add_f64 v[10:11], v[10:11], v[14:15]
	v_add_lshl_u32 v15, v12, v20, 2
	v_cmp_gt_u32_e32 vcc, 56, v21
	ds_bpermute_b32 v12, v15, v8
	ds_bpermute_b32 v13, v15, v9
	ds_bpermute_b32 v14, v15, v10
	ds_bpermute_b32 v15, v15, v11
	s_waitcnt lgkmcnt(0)
	v_add_f64 v[8:9], v[8:9], v[12:13]
	v_cndmask_b32_e64 v12, 0, 8, vcc
	s_waitcnt lgkmcnt(0)
	v_add_f64 v[10:11], v[10:11], v[14:15]
	v_add_lshl_u32 v15, v12, v20, 2
	;; [unrolled: 11-line block ×3, first 2 shown]
	ds_bpermute_b32 v12, v15, v8
	ds_bpermute_b32 v13, v15, v9
	;; [unrolled: 1-line block ×4, first 2 shown]
	s_waitcnt lgkmcnt(0)
	v_add_f64 v[8:9], v[8:9], v[12:13]
	s_waitcnt lgkmcnt(0)
	v_add_f64 v[10:11], v[10:11], v[14:15]
	ds_bpermute_b32 v12, v22, v8
	ds_bpermute_b32 v13, v22, v9
	ds_bpermute_b32 v14, v22, v10
	ds_bpermute_b32 v15, v22, v11
	s_waitcnt lgkmcnt(0)
	v_add_f64 v[8:9], v[8:9], v[12:13]
	s_waitcnt lgkmcnt(0)
	v_add_f64 v[10:11], v[10:11], v[14:15]
	s_and_saveexec_b64 s[8:9], s[4:5]
; %bb.14:                               ;   in Loop: Header=BB39_8 Depth=1
	ds_write2_b64 v18, v[8:9], v[10:11] offset1:1
; %bb.15:                               ;   in Loop: Header=BB39_8 Depth=1
	s_or_b64 exec, exec, s[8:9]
	s_mov_b64 s[22:23], 0
	s_mov_b64 s[8:9], 0
	s_waitcnt vmcnt(0) lgkmcnt(0)
	s_barrier
                                        ; implicit-def: $vgpr12_vgpr13
                                        ; implicit-def: $vgpr14_vgpr15
	s_and_saveexec_b64 s[24:25], s[6:7]
	s_xor_b64 s[24:25], exec, s[24:25]
	s_cbranch_execz .LBB39_17
; %bb.16:                               ;   in Loop: Header=BB39_8 Depth=1
	ds_read_b128 v[12:15], v19 offset:32784
	ds_read_b128 v[23:26], v19 offset:32800
	s_mov_b64 s[8:9], exec
	s_waitcnt lgkmcnt(1)
	v_add_f64 v[8:9], v[8:9], v[12:13]
	v_add_f64 v[10:11], v[10:11], v[14:15]
	s_waitcnt lgkmcnt(0)
	v_add_f64 v[23:24], v[8:9], v[23:24]
	v_add_f64 v[25:26], v[10:11], v[25:26]
	ds_read_b128 v[8:11], v19 offset:32816
	ds_read_b128 v[12:15], v19 offset:32832
	s_waitcnt lgkmcnt(1)
	v_add_f64 v[8:9], v[23:24], v[8:9]
	v_add_f64 v[10:11], v[25:26], v[10:11]
	s_waitcnt lgkmcnt(0)
	v_add_f64 v[23:24], v[8:9], v[12:13]
	v_add_f64 v[25:26], v[10:11], v[14:15]
	ds_read_b128 v[8:11], v19 offset:32848
	ds_read_b128 v[12:15], v19 offset:32864
	;; [unrolled: 8-line block ×6, first 2 shown]
	s_waitcnt lgkmcnt(1)
	v_add_f64 v[8:9], v[23:24], v[8:9]
	v_add_f64 v[10:11], v[25:26], v[10:11]
	s_waitcnt lgkmcnt(0)
	v_add_f64 v[12:13], v[8:9], v[12:13]
	v_add_f64 v[23:24], v[10:11], v[14:15]
	ds_read_b128 v[8:11], v19 offset:33008
	s_waitcnt lgkmcnt(0)
	v_add_f64 v[14:15], v[12:13], v[8:9]
	v_add_f64 v[12:13], v[23:24], v[10:11]
.LBB39_17:                              ;   in Loop: Header=BB39_8 Depth=1
	s_or_b64 exec, exec, s[24:25]
	s_and_b64 vcc, exec, s[22:23]
	s_cbranch_vccnz .LBB39_20
.LBB39_18:                              ;   in Loop: Header=BB39_8 Depth=1
	v_mov_b32_e32 v4, v12
	v_mov_b32_e32 v2, v14
	;; [unrolled: 1-line block ×4, first 2 shown]
	s_and_saveexec_b64 s[22:23], s[8:9]
	s_cbranch_execnz .LBB39_21
	s_branch .LBB39_22
.LBB39_19:                              ;   in Loop: Header=BB39_8 Depth=1
	s_mov_b64 s[8:9], 0
                                        ; implicit-def: $vgpr12_vgpr13
                                        ; implicit-def: $vgpr14_vgpr15
	s_cbranch_execz .LBB39_18
.LBB39_20:                              ;   in Loop: Header=BB39_8 Depth=1
	s_andn2_b64 s[8:9], s[8:9], exec
	s_and_b64 s[22:23], s[6:7], exec
	s_or_b64 s[8:9], s[8:9], s[22:23]
	s_and_saveexec_b64 s[22:23], s[8:9]
.LBB39_21:                              ;   in Loop: Header=BB39_8 Depth=1
	ds_write_b128 v19, v[2:5] offset:32768
.LBB39_22:                              ;   in Loop: Header=BB39_8 Depth=1
	s_or_b64 exec, exec, s[22:23]
	s_waitcnt vmcnt(0) lgkmcnt(0)
	s_barrier
	s_and_saveexec_b64 s[8:9], s[0:1]
	s_cbranch_execz .LBB39_7
; %bb.23:                               ;   in Loop: Header=BB39_8 Depth=1
	global_load_dwordx4 v[2:5], v19, s[16:17]
	ds_read_b128 v[8:11], v19 offset:32768
	s_mov_b64 s[22:23], 0
	s_waitcnt vmcnt(0) lgkmcnt(0)
	v_mul_f64 v[12:13], v[2:3], v[8:9]
	v_mul_f64 v[14:15], v[2:3], v[10:11]
	v_fma_f64 v[2:3], v[4:5], v[10:11], -v[12:13]
	v_fma_f64 v[4:5], v[8:9], -v[4:5], -v[14:15]
	v_mov_b32_e32 v9, v7
	v_mov_b32_e32 v11, v1
	;; [unrolled: 1-line block ×5, first 2 shown]
.LBB39_24:                              ;   Parent Loop BB39_8 Depth=1
                                        ; =>  This Inner Loop Header: Depth=2
	flat_load_dwordx4 v[23:26], v[8:9]
	ds_read_b128 v[27:30], v12
	v_add_co_u32_e32 v10, vcc, s29, v10
	v_addc_co_u32_e32 v11, vcc, 0, v11, vcc
	s_waitcnt lgkmcnt(0)
	v_mul_f64 v[13:14], v[4:5], v[29:30]
	v_mul_f64 v[29:30], v[2:3], v[29:30]
	v_cmp_le_i64_e32 vcc, s[14:15], v[10:11]
	v_add_u32_e32 v12, 0x4000, v12
	s_or_b64 s[22:23], vcc, s[22:23]
	v_fma_f64 v[13:14], v[2:3], v[27:28], v[13:14]
	v_fma_f64 v[27:28], v[4:5], v[27:28], -v[29:30]
	s_waitcnt vmcnt(0)
	v_add_f64 v[23:24], v[23:24], v[13:14]
	v_add_f64 v[25:26], v[27:28], v[25:26]
	v_mov_b32_e32 v13, s21
	flat_store_dwordx4 v[8:9], v[23:26]
	v_add_co_u32_e32 v8, vcc, s20, v8
	v_addc_co_u32_e32 v9, vcc, v9, v13, vcc
	s_andn2_b64 exec, exec, s[22:23]
	s_cbranch_execnz .LBB39_24
	s_branch .LBB39_7
.LBB39_25:
	s_endpgm
	.section	.rodata,"a",@progbits
	.p2align	6, 0x0
	.amdhsa_kernel _ZN9rocsolver6v33100L23larf_right_kernel_smallILi1024E19rocblas_complex_numIdElPKPS3_EEvT1_S7_T2_lS7_lPKT0_lS8_lS7_l
		.amdhsa_group_segment_fixed_size 33024
		.amdhsa_private_segment_fixed_size 0
		.amdhsa_kernarg_size 96
		.amdhsa_user_sgpr_count 6
		.amdhsa_user_sgpr_private_segment_buffer 1
		.amdhsa_user_sgpr_dispatch_ptr 0
		.amdhsa_user_sgpr_queue_ptr 0
		.amdhsa_user_sgpr_kernarg_segment_ptr 1
		.amdhsa_user_sgpr_dispatch_id 0
		.amdhsa_user_sgpr_flat_scratch_init 0
		.amdhsa_user_sgpr_private_segment_size 0
		.amdhsa_uses_dynamic_stack 0
		.amdhsa_system_sgpr_private_segment_wavefront_offset 0
		.amdhsa_system_sgpr_workgroup_id_x 1
		.amdhsa_system_sgpr_workgroup_id_y 1
		.amdhsa_system_sgpr_workgroup_id_z 0
		.amdhsa_system_sgpr_workgroup_info 0
		.amdhsa_system_vgpr_workitem_id 0
		.amdhsa_next_free_vgpr 49
		.amdhsa_next_free_sgpr 98
		.amdhsa_reserve_vcc 1
		.amdhsa_reserve_flat_scratch 0
		.amdhsa_float_round_mode_32 0
		.amdhsa_float_round_mode_16_64 0
		.amdhsa_float_denorm_mode_32 3
		.amdhsa_float_denorm_mode_16_64 3
		.amdhsa_dx10_clamp 1
		.amdhsa_ieee_mode 1
		.amdhsa_fp16_overflow 0
		.amdhsa_exception_fp_ieee_invalid_op 0
		.amdhsa_exception_fp_denorm_src 0
		.amdhsa_exception_fp_ieee_div_zero 0
		.amdhsa_exception_fp_ieee_overflow 0
		.amdhsa_exception_fp_ieee_underflow 0
		.amdhsa_exception_fp_ieee_inexact 0
		.amdhsa_exception_int_div_zero 0
	.end_amdhsa_kernel
	.section	.text._ZN9rocsolver6v33100L23larf_right_kernel_smallILi1024E19rocblas_complex_numIdElPKPS3_EEvT1_S7_T2_lS7_lPKT0_lS8_lS7_l,"axG",@progbits,_ZN9rocsolver6v33100L23larf_right_kernel_smallILi1024E19rocblas_complex_numIdElPKPS3_EEvT1_S7_T2_lS7_lPKT0_lS8_lS7_l,comdat
.Lfunc_end39:
	.size	_ZN9rocsolver6v33100L23larf_right_kernel_smallILi1024E19rocblas_complex_numIdElPKPS3_EEvT1_S7_T2_lS7_lPKT0_lS8_lS7_l, .Lfunc_end39-_ZN9rocsolver6v33100L23larf_right_kernel_smallILi1024E19rocblas_complex_numIdElPKPS3_EEvT1_S7_T2_lS7_lPKT0_lS8_lS7_l
                                        ; -- End function
	.set _ZN9rocsolver6v33100L23larf_right_kernel_smallILi1024E19rocblas_complex_numIdElPKPS3_EEvT1_S7_T2_lS7_lPKT0_lS8_lS7_l.num_vgpr, 31
	.set _ZN9rocsolver6v33100L23larf_right_kernel_smallILi1024E19rocblas_complex_numIdElPKPS3_EEvT1_S7_T2_lS7_lPKT0_lS8_lS7_l.num_agpr, 0
	.set _ZN9rocsolver6v33100L23larf_right_kernel_smallILi1024E19rocblas_complex_numIdElPKPS3_EEvT1_S7_T2_lS7_lPKT0_lS8_lS7_l.numbered_sgpr, 32
	.set _ZN9rocsolver6v33100L23larf_right_kernel_smallILi1024E19rocblas_complex_numIdElPKPS3_EEvT1_S7_T2_lS7_lPKT0_lS8_lS7_l.num_named_barrier, 0
	.set _ZN9rocsolver6v33100L23larf_right_kernel_smallILi1024E19rocblas_complex_numIdElPKPS3_EEvT1_S7_T2_lS7_lPKT0_lS8_lS7_l.private_seg_size, 0
	.set _ZN9rocsolver6v33100L23larf_right_kernel_smallILi1024E19rocblas_complex_numIdElPKPS3_EEvT1_S7_T2_lS7_lPKT0_lS8_lS7_l.uses_vcc, 1
	.set _ZN9rocsolver6v33100L23larf_right_kernel_smallILi1024E19rocblas_complex_numIdElPKPS3_EEvT1_S7_T2_lS7_lPKT0_lS8_lS7_l.uses_flat_scratch, 0
	.set _ZN9rocsolver6v33100L23larf_right_kernel_smallILi1024E19rocblas_complex_numIdElPKPS3_EEvT1_S7_T2_lS7_lPKT0_lS8_lS7_l.has_dyn_sized_stack, 0
	.set _ZN9rocsolver6v33100L23larf_right_kernel_smallILi1024E19rocblas_complex_numIdElPKPS3_EEvT1_S7_T2_lS7_lPKT0_lS8_lS7_l.has_recursion, 0
	.set _ZN9rocsolver6v33100L23larf_right_kernel_smallILi1024E19rocblas_complex_numIdElPKPS3_EEvT1_S7_T2_lS7_lPKT0_lS8_lS7_l.has_indirect_call, 0
	.section	.AMDGPU.csdata,"",@progbits
; Kernel info:
; codeLenInByte = 2012
; TotalNumSgprs: 36
; NumVgprs: 31
; ScratchSize: 0
; MemoryBound: 0
; FloatMode: 240
; IeeeMode: 1
; LDSByteSize: 33024 bytes/workgroup (compile time only)
; SGPRBlocks: 12
; VGPRBlocks: 12
; NumSGPRsForWavesPerEU: 102
; NumVGPRsForWavesPerEU: 49
; Occupancy: 4
; WaveLimiterHint : 1
; COMPUTE_PGM_RSRC2:SCRATCH_EN: 0
; COMPUTE_PGM_RSRC2:USER_SGPR: 6
; COMPUTE_PGM_RSRC2:TRAP_HANDLER: 0
; COMPUTE_PGM_RSRC2:TGID_X_EN: 1
; COMPUTE_PGM_RSRC2:TGID_Y_EN: 1
; COMPUTE_PGM_RSRC2:TGID_Z_EN: 0
; COMPUTE_PGM_RSRC2:TIDIG_COMP_CNT: 0
	.section	.AMDGPU.gpr_maximums,"",@progbits
	.set amdgpu.max_num_vgpr, 0
	.set amdgpu.max_num_agpr, 0
	.set amdgpu.max_num_sgpr, 0
	.section	.AMDGPU.csdata,"",@progbits
	.type	__hip_cuid_6aba08e87cf61fe9,@object ; @__hip_cuid_6aba08e87cf61fe9
	.section	.bss,"aw",@nobits
	.globl	__hip_cuid_6aba08e87cf61fe9
__hip_cuid_6aba08e87cf61fe9:
	.byte	0                               ; 0x0
	.size	__hip_cuid_6aba08e87cf61fe9, 1

	.ident	"AMD clang version 22.0.0git (https://github.com/RadeonOpenCompute/llvm-project roc-7.2.4 26084 f58b06dce1f9c15707c5f808fd002e18c2accf7e)"
	.section	".note.GNU-stack","",@progbits
	.addrsig
	.addrsig_sym __hip_cuid_6aba08e87cf61fe9
	.amdgpu_metadata
---
amdhsa.kernels:
  - .args:
      - .offset:         0
        .size:           4
        .value_kind:     by_value
      - .offset:         4
        .size:           4
        .value_kind:     by_value
      - .address_space:  global
        .offset:         8
        .size:           8
        .value_kind:     global_buffer
      - .offset:         16
        .size:           8
        .value_kind:     by_value
      - .offset:         24
        .size:           4
        .value_kind:     by_value
      - .offset:         32
        .size:           8
        .value_kind:     by_value
      - .address_space:  global
        .offset:         40
        .size:           8
        .value_kind:     global_buffer
      - .offset:         48
        .size:           8
        .value_kind:     by_value
      - .address_space:  global
        .offset:         56
        .size:           8
        .value_kind:     global_buffer
      - .offset:         64
        .size:           8
        .value_kind:     by_value
      - .offset:         72
        .size:           4
        .value_kind:     by_value
      - .offset:         80
        .size:           8
        .value_kind:     by_value
    .group_segment_fixed_size: 33792
    .kernarg_segment_align: 8
    .kernarg_segment_size: 88
    .language:       OpenCL C
    .language_version:
      - 2
      - 0
    .max_flat_workgroup_size: 64
    .name:           _ZN9rocsolver6v33100L22larf_left_kernel_smallILi64E19rocblas_complex_numIdEiPS3_EEvT1_S5_T2_lS5_lPKT0_lS6_lS5_l
    .private_segment_fixed_size: 0
    .sgpr_count:     32
    .sgpr_spill_count: 0
    .symbol:         _ZN9rocsolver6v33100L22larf_left_kernel_smallILi64E19rocblas_complex_numIdEiPS3_EEvT1_S5_T2_lS5_lPKT0_lS6_lS5_l.kd
    .uniform_work_group_size: 1
    .uses_dynamic_stack: false
    .vgpr_count:     29
    .vgpr_spill_count: 0
    .wavefront_size: 64
  - .args:
      - .offset:         0
        .size:           4
        .value_kind:     by_value
      - .offset:         4
        .size:           4
        .value_kind:     by_value
      - .address_space:  global
        .offset:         8
        .size:           8
        .value_kind:     global_buffer
      - .offset:         16
        .size:           8
        .value_kind:     by_value
      - .offset:         24
        .size:           4
        .value_kind:     by_value
      - .offset:         32
        .size:           8
        .value_kind:     by_value
      - .address_space:  global
        .offset:         40
        .size:           8
        .value_kind:     global_buffer
      - .offset:         48
        .size:           8
        .value_kind:     by_value
      - .address_space:  global
        .offset:         56
        .size:           8
        .value_kind:     global_buffer
      - .offset:         64
        .size:           8
        .value_kind:     by_value
      - .offset:         72
        .size:           4
        .value_kind:     by_value
      - .offset:         80
        .size:           8
        .value_kind:     by_value
    .group_segment_fixed_size: 34816
    .kernarg_segment_align: 8
    .kernarg_segment_size: 88
    .language:       OpenCL C
    .language_version:
      - 2
      - 0
    .max_flat_workgroup_size: 128
    .name:           _ZN9rocsolver6v33100L22larf_left_kernel_smallILi128E19rocblas_complex_numIdEiPS3_EEvT1_S5_T2_lS5_lPKT0_lS6_lS5_l
    .private_segment_fixed_size: 0
    .sgpr_count:     32
    .sgpr_spill_count: 0
    .symbol:         _ZN9rocsolver6v33100L22larf_left_kernel_smallILi128E19rocblas_complex_numIdEiPS3_EEvT1_S5_T2_lS5_lPKT0_lS6_lS5_l.kd
    .uniform_work_group_size: 1
    .uses_dynamic_stack: false
    .vgpr_count:     29
    .vgpr_spill_count: 0
    .wavefront_size: 64
  - .args:
      - .offset:         0
        .size:           4
        .value_kind:     by_value
      - .offset:         4
        .size:           4
        .value_kind:     by_value
      - .address_space:  global
        .offset:         8
        .size:           8
        .value_kind:     global_buffer
      - .offset:         16
        .size:           8
        .value_kind:     by_value
      - .offset:         24
        .size:           4
        .value_kind:     by_value
      - .offset:         32
        .size:           8
        .value_kind:     by_value
      - .address_space:  global
        .offset:         40
        .size:           8
        .value_kind:     global_buffer
      - .offset:         48
        .size:           8
        .value_kind:     by_value
      - .address_space:  global
        .offset:         56
        .size:           8
        .value_kind:     global_buffer
      - .offset:         64
        .size:           8
        .value_kind:     by_value
      - .offset:         72
        .size:           4
        .value_kind:     by_value
      - .offset:         80
        .size:           8
        .value_kind:     by_value
    .group_segment_fixed_size: 36864
    .kernarg_segment_align: 8
    .kernarg_segment_size: 88
    .language:       OpenCL C
    .language_version:
      - 2
      - 0
    .max_flat_workgroup_size: 256
    .name:           _ZN9rocsolver6v33100L22larf_left_kernel_smallILi256E19rocblas_complex_numIdEiPS3_EEvT1_S5_T2_lS5_lPKT0_lS6_lS5_l
    .private_segment_fixed_size: 0
    .sgpr_count:     32
    .sgpr_spill_count: 0
    .symbol:         _ZN9rocsolver6v33100L22larf_left_kernel_smallILi256E19rocblas_complex_numIdEiPS3_EEvT1_S5_T2_lS5_lPKT0_lS6_lS5_l.kd
    .uniform_work_group_size: 1
    .uses_dynamic_stack: false
    .vgpr_count:     29
    .vgpr_spill_count: 0
    .wavefront_size: 64
  - .args:
      - .offset:         0
        .size:           4
        .value_kind:     by_value
      - .offset:         4
        .size:           4
        .value_kind:     by_value
      - .address_space:  global
        .offset:         8
        .size:           8
        .value_kind:     global_buffer
      - .offset:         16
        .size:           8
        .value_kind:     by_value
      - .offset:         24
        .size:           4
        .value_kind:     by_value
      - .offset:         32
        .size:           8
        .value_kind:     by_value
      - .address_space:  global
        .offset:         40
        .size:           8
        .value_kind:     global_buffer
      - .offset:         48
        .size:           8
        .value_kind:     by_value
      - .address_space:  global
        .offset:         56
        .size:           8
        .value_kind:     global_buffer
      - .offset:         64
        .size:           8
        .value_kind:     by_value
      - .offset:         72
        .size:           4
        .value_kind:     by_value
      - .offset:         80
        .size:           8
        .value_kind:     by_value
    .group_segment_fixed_size: 40960
    .kernarg_segment_align: 8
    .kernarg_segment_size: 88
    .language:       OpenCL C
    .language_version:
      - 2
      - 0
    .max_flat_workgroup_size: 512
    .name:           _ZN9rocsolver6v33100L22larf_left_kernel_smallILi512E19rocblas_complex_numIdEiPS3_EEvT1_S5_T2_lS5_lPKT0_lS6_lS5_l
    .private_segment_fixed_size: 0
    .sgpr_count:     32
    .sgpr_spill_count: 0
    .symbol:         _ZN9rocsolver6v33100L22larf_left_kernel_smallILi512E19rocblas_complex_numIdEiPS3_EEvT1_S5_T2_lS5_lPKT0_lS6_lS5_l.kd
    .uniform_work_group_size: 1
    .uses_dynamic_stack: false
    .vgpr_count:     29
    .vgpr_spill_count: 0
    .wavefront_size: 64
  - .args:
      - .offset:         0
        .size:           4
        .value_kind:     by_value
      - .offset:         4
        .size:           4
        .value_kind:     by_value
      - .address_space:  global
        .offset:         8
        .size:           8
        .value_kind:     global_buffer
      - .offset:         16
        .size:           8
        .value_kind:     by_value
      - .offset:         24
        .size:           4
        .value_kind:     by_value
      - .offset:         32
        .size:           8
        .value_kind:     by_value
      - .address_space:  global
        .offset:         40
        .size:           8
        .value_kind:     global_buffer
      - .offset:         48
        .size:           8
        .value_kind:     by_value
      - .address_space:  global
        .offset:         56
        .size:           8
        .value_kind:     global_buffer
      - .offset:         64
        .size:           8
        .value_kind:     by_value
      - .offset:         72
        .size:           4
        .value_kind:     by_value
      - .offset:         80
        .size:           8
        .value_kind:     by_value
    .group_segment_fixed_size: 49152
    .kernarg_segment_align: 8
    .kernarg_segment_size: 88
    .language:       OpenCL C
    .language_version:
      - 2
      - 0
    .max_flat_workgroup_size: 1024
    .name:           _ZN9rocsolver6v33100L22larf_left_kernel_smallILi1024E19rocblas_complex_numIdEiPS3_EEvT1_S5_T2_lS5_lPKT0_lS6_lS5_l
    .private_segment_fixed_size: 0
    .sgpr_count:     32
    .sgpr_spill_count: 0
    .symbol:         _ZN9rocsolver6v33100L22larf_left_kernel_smallILi1024E19rocblas_complex_numIdEiPS3_EEvT1_S5_T2_lS5_lPKT0_lS6_lS5_l.kd
    .uniform_work_group_size: 1
    .uses_dynamic_stack: false
    .vgpr_count:     29
    .vgpr_spill_count: 0
    .wavefront_size: 64
  - .args:
      - .offset:         0
        .size:           4
        .value_kind:     by_value
      - .offset:         4
        .size:           4
        .value_kind:     by_value
      - .address_space:  global
        .offset:         8
        .size:           8
        .value_kind:     global_buffer
      - .offset:         16
        .size:           8
        .value_kind:     by_value
      - .offset:         24
        .size:           4
        .value_kind:     by_value
      - .offset:         32
        .size:           8
        .value_kind:     by_value
      - .address_space:  global
        .offset:         40
        .size:           8
        .value_kind:     global_buffer
      - .offset:         48
        .size:           8
        .value_kind:     by_value
      - .address_space:  global
        .offset:         56
        .size:           8
        .value_kind:     global_buffer
      - .offset:         64
        .size:           8
        .value_kind:     by_value
      - .offset:         72
        .size:           4
        .value_kind:     by_value
      - .offset:         80
        .size:           8
        .value_kind:     by_value
    .group_segment_fixed_size: 32784
    .kernarg_segment_align: 8
    .kernarg_segment_size: 88
    .language:       OpenCL C
    .language_version:
      - 2
      - 0
    .max_flat_workgroup_size: 64
    .name:           _ZN9rocsolver6v33100L23larf_right_kernel_smallILi64E19rocblas_complex_numIdEiPS3_EEvT1_S5_T2_lS5_lPKT0_lS6_lS5_l
    .private_segment_fixed_size: 0
    .sgpr_count:     32
    .sgpr_spill_count: 0
    .symbol:         _ZN9rocsolver6v33100L23larf_right_kernel_smallILi64E19rocblas_complex_numIdEiPS3_EEvT1_S5_T2_lS5_lPKT0_lS6_lS5_l.kd
    .uniform_work_group_size: 1
    .uses_dynamic_stack: false
    .vgpr_count:     29
    .vgpr_spill_count: 0
    .wavefront_size: 64
  - .args:
      - .offset:         0
        .size:           4
        .value_kind:     by_value
      - .offset:         4
        .size:           4
        .value_kind:     by_value
      - .address_space:  global
        .offset:         8
        .size:           8
        .value_kind:     global_buffer
      - .offset:         16
        .size:           8
        .value_kind:     by_value
      - .offset:         24
        .size:           4
        .value_kind:     by_value
      - .offset:         32
        .size:           8
        .value_kind:     by_value
      - .address_space:  global
        .offset:         40
        .size:           8
        .value_kind:     global_buffer
      - .offset:         48
        .size:           8
        .value_kind:     by_value
      - .address_space:  global
        .offset:         56
        .size:           8
        .value_kind:     global_buffer
      - .offset:         64
        .size:           8
        .value_kind:     by_value
      - .offset:         72
        .size:           4
        .value_kind:     by_value
      - .offset:         80
        .size:           8
        .value_kind:     by_value
    .group_segment_fixed_size: 32800
    .kernarg_segment_align: 8
    .kernarg_segment_size: 88
    .language:       OpenCL C
    .language_version:
      - 2
      - 0
    .max_flat_workgroup_size: 128
    .name:           _ZN9rocsolver6v33100L23larf_right_kernel_smallILi128E19rocblas_complex_numIdEiPS3_EEvT1_S5_T2_lS5_lPKT0_lS6_lS5_l
    .private_segment_fixed_size: 0
    .sgpr_count:     32
    .sgpr_spill_count: 0
    .symbol:         _ZN9rocsolver6v33100L23larf_right_kernel_smallILi128E19rocblas_complex_numIdEiPS3_EEvT1_S5_T2_lS5_lPKT0_lS6_lS5_l.kd
    .uniform_work_group_size: 1
    .uses_dynamic_stack: false
    .vgpr_count:     30
    .vgpr_spill_count: 0
    .wavefront_size: 64
  - .args:
      - .offset:         0
        .size:           4
        .value_kind:     by_value
      - .offset:         4
        .size:           4
        .value_kind:     by_value
      - .address_space:  global
        .offset:         8
        .size:           8
        .value_kind:     global_buffer
      - .offset:         16
        .size:           8
        .value_kind:     by_value
      - .offset:         24
        .size:           4
        .value_kind:     by_value
      - .offset:         32
        .size:           8
        .value_kind:     by_value
      - .address_space:  global
        .offset:         40
        .size:           8
        .value_kind:     global_buffer
      - .offset:         48
        .size:           8
        .value_kind:     by_value
      - .address_space:  global
        .offset:         56
        .size:           8
        .value_kind:     global_buffer
      - .offset:         64
        .size:           8
        .value_kind:     by_value
      - .offset:         72
        .size:           4
        .value_kind:     by_value
      - .offset:         80
        .size:           8
        .value_kind:     by_value
    .group_segment_fixed_size: 32832
    .kernarg_segment_align: 8
    .kernarg_segment_size: 88
    .language:       OpenCL C
    .language_version:
      - 2
      - 0
    .max_flat_workgroup_size: 256
    .name:           _ZN9rocsolver6v33100L23larf_right_kernel_smallILi256E19rocblas_complex_numIdEiPS3_EEvT1_S5_T2_lS5_lPKT0_lS6_lS5_l
    .private_segment_fixed_size: 0
    .sgpr_count:     32
    .sgpr_spill_count: 0
    .symbol:         _ZN9rocsolver6v33100L23larf_right_kernel_smallILi256E19rocblas_complex_numIdEiPS3_EEvT1_S5_T2_lS5_lPKT0_lS6_lS5_l.kd
    .uniform_work_group_size: 1
    .uses_dynamic_stack: false
    .vgpr_count:     30
    .vgpr_spill_count: 0
    .wavefront_size: 64
  - .args:
      - .offset:         0
        .size:           4
        .value_kind:     by_value
      - .offset:         4
        .size:           4
        .value_kind:     by_value
      - .address_space:  global
        .offset:         8
        .size:           8
        .value_kind:     global_buffer
      - .offset:         16
        .size:           8
        .value_kind:     by_value
      - .offset:         24
        .size:           4
        .value_kind:     by_value
      - .offset:         32
        .size:           8
        .value_kind:     by_value
      - .address_space:  global
        .offset:         40
        .size:           8
        .value_kind:     global_buffer
      - .offset:         48
        .size:           8
        .value_kind:     by_value
      - .address_space:  global
        .offset:         56
        .size:           8
        .value_kind:     global_buffer
      - .offset:         64
        .size:           8
        .value_kind:     by_value
      - .offset:         72
        .size:           4
        .value_kind:     by_value
      - .offset:         80
        .size:           8
        .value_kind:     by_value
    .group_segment_fixed_size: 32896
    .kernarg_segment_align: 8
    .kernarg_segment_size: 88
    .language:       OpenCL C
    .language_version:
      - 2
      - 0
    .max_flat_workgroup_size: 512
    .name:           _ZN9rocsolver6v33100L23larf_right_kernel_smallILi512E19rocblas_complex_numIdEiPS3_EEvT1_S5_T2_lS5_lPKT0_lS6_lS5_l
    .private_segment_fixed_size: 0
    .sgpr_count:     32
    .sgpr_spill_count: 0
    .symbol:         _ZN9rocsolver6v33100L23larf_right_kernel_smallILi512E19rocblas_complex_numIdEiPS3_EEvT1_S5_T2_lS5_lPKT0_lS6_lS5_l.kd
    .uniform_work_group_size: 1
    .uses_dynamic_stack: false
    .vgpr_count:     28
    .vgpr_spill_count: 0
    .wavefront_size: 64
  - .args:
      - .offset:         0
        .size:           4
        .value_kind:     by_value
      - .offset:         4
        .size:           4
        .value_kind:     by_value
      - .address_space:  global
        .offset:         8
        .size:           8
        .value_kind:     global_buffer
      - .offset:         16
        .size:           8
        .value_kind:     by_value
      - .offset:         24
        .size:           4
        .value_kind:     by_value
      - .offset:         32
        .size:           8
        .value_kind:     by_value
      - .address_space:  global
        .offset:         40
        .size:           8
        .value_kind:     global_buffer
      - .offset:         48
        .size:           8
        .value_kind:     by_value
      - .address_space:  global
        .offset:         56
        .size:           8
        .value_kind:     global_buffer
      - .offset:         64
        .size:           8
        .value_kind:     by_value
      - .offset:         72
        .size:           4
        .value_kind:     by_value
      - .offset:         80
        .size:           8
        .value_kind:     by_value
    .group_segment_fixed_size: 33024
    .kernarg_segment_align: 8
    .kernarg_segment_size: 88
    .language:       OpenCL C
    .language_version:
      - 2
      - 0
    .max_flat_workgroup_size: 1024
    .name:           _ZN9rocsolver6v33100L23larf_right_kernel_smallILi1024E19rocblas_complex_numIdEiPS3_EEvT1_S5_T2_lS5_lPKT0_lS6_lS5_l
    .private_segment_fixed_size: 0
    .sgpr_count:     32
    .sgpr_spill_count: 0
    .symbol:         _ZN9rocsolver6v33100L23larf_right_kernel_smallILi1024E19rocblas_complex_numIdEiPS3_EEvT1_S5_T2_lS5_lPKT0_lS6_lS5_l.kd
    .uniform_work_group_size: 1
    .uses_dynamic_stack: false
    .vgpr_count:     28
    .vgpr_spill_count: 0
    .wavefront_size: 64
  - .args:
      - .offset:         0
        .size:           4
        .value_kind:     by_value
      - .offset:         4
        .size:           4
        .value_kind:     by_value
      - .address_space:  global
        .offset:         8
        .size:           8
        .value_kind:     global_buffer
      - .offset:         16
        .size:           8
        .value_kind:     by_value
      - .offset:         24
        .size:           4
        .value_kind:     by_value
      - .offset:         32
        .size:           8
        .value_kind:     by_value
      - .address_space:  global
        .offset:         40
        .size:           8
        .value_kind:     global_buffer
      - .offset:         48
        .size:           8
        .value_kind:     by_value
      - .address_space:  global
        .offset:         56
        .size:           8
        .value_kind:     global_buffer
      - .offset:         64
        .size:           8
        .value_kind:     by_value
      - .offset:         72
        .size:           4
        .value_kind:     by_value
      - .offset:         80
        .size:           8
        .value_kind:     by_value
    .group_segment_fixed_size: 33792
    .kernarg_segment_align: 8
    .kernarg_segment_size: 88
    .language:       OpenCL C
    .language_version:
      - 2
      - 0
    .max_flat_workgroup_size: 64
    .name:           _ZN9rocsolver6v33100L22larf_left_kernel_smallILi64E19rocblas_complex_numIdEiPKPS3_EEvT1_S7_T2_lS7_lPKT0_lS8_lS7_l
    .private_segment_fixed_size: 0
    .sgpr_count:     33
    .sgpr_spill_count: 0
    .symbol:         _ZN9rocsolver6v33100L22larf_left_kernel_smallILi64E19rocblas_complex_numIdEiPKPS3_EEvT1_S7_T2_lS7_lPKT0_lS8_lS7_l.kd
    .uniform_work_group_size: 1
    .uses_dynamic_stack: false
    .vgpr_count:     29
    .vgpr_spill_count: 0
    .wavefront_size: 64
  - .args:
      - .offset:         0
        .size:           4
        .value_kind:     by_value
      - .offset:         4
        .size:           4
        .value_kind:     by_value
      - .address_space:  global
        .offset:         8
        .size:           8
        .value_kind:     global_buffer
      - .offset:         16
        .size:           8
        .value_kind:     by_value
      - .offset:         24
        .size:           4
        .value_kind:     by_value
      - .offset:         32
        .size:           8
        .value_kind:     by_value
      - .address_space:  global
        .offset:         40
        .size:           8
        .value_kind:     global_buffer
      - .offset:         48
        .size:           8
        .value_kind:     by_value
      - .address_space:  global
        .offset:         56
        .size:           8
        .value_kind:     global_buffer
      - .offset:         64
        .size:           8
        .value_kind:     by_value
      - .offset:         72
        .size:           4
        .value_kind:     by_value
      - .offset:         80
        .size:           8
        .value_kind:     by_value
    .group_segment_fixed_size: 34816
    .kernarg_segment_align: 8
    .kernarg_segment_size: 88
    .language:       OpenCL C
    .language_version:
      - 2
      - 0
    .max_flat_workgroup_size: 128
    .name:           _ZN9rocsolver6v33100L22larf_left_kernel_smallILi128E19rocblas_complex_numIdEiPKPS3_EEvT1_S7_T2_lS7_lPKT0_lS8_lS7_l
    .private_segment_fixed_size: 0
    .sgpr_count:     33
    .sgpr_spill_count: 0
    .symbol:         _ZN9rocsolver6v33100L22larf_left_kernel_smallILi128E19rocblas_complex_numIdEiPKPS3_EEvT1_S7_T2_lS7_lPKT0_lS8_lS7_l.kd
    .uniform_work_group_size: 1
    .uses_dynamic_stack: false
    .vgpr_count:     29
    .vgpr_spill_count: 0
    .wavefront_size: 64
  - .args:
      - .offset:         0
        .size:           4
        .value_kind:     by_value
      - .offset:         4
        .size:           4
        .value_kind:     by_value
      - .address_space:  global
        .offset:         8
        .size:           8
        .value_kind:     global_buffer
      - .offset:         16
        .size:           8
        .value_kind:     by_value
      - .offset:         24
        .size:           4
        .value_kind:     by_value
      - .offset:         32
        .size:           8
        .value_kind:     by_value
      - .address_space:  global
        .offset:         40
        .size:           8
        .value_kind:     global_buffer
      - .offset:         48
        .size:           8
        .value_kind:     by_value
      - .address_space:  global
        .offset:         56
        .size:           8
        .value_kind:     global_buffer
      - .offset:         64
        .size:           8
        .value_kind:     by_value
      - .offset:         72
        .size:           4
        .value_kind:     by_value
      - .offset:         80
        .size:           8
        .value_kind:     by_value
    .group_segment_fixed_size: 36864
    .kernarg_segment_align: 8
    .kernarg_segment_size: 88
    .language:       OpenCL C
    .language_version:
      - 2
      - 0
    .max_flat_workgroup_size: 256
    .name:           _ZN9rocsolver6v33100L22larf_left_kernel_smallILi256E19rocblas_complex_numIdEiPKPS3_EEvT1_S7_T2_lS7_lPKT0_lS8_lS7_l
    .private_segment_fixed_size: 0
    .sgpr_count:     33
    .sgpr_spill_count: 0
    .symbol:         _ZN9rocsolver6v33100L22larf_left_kernel_smallILi256E19rocblas_complex_numIdEiPKPS3_EEvT1_S7_T2_lS7_lPKT0_lS8_lS7_l.kd
    .uniform_work_group_size: 1
    .uses_dynamic_stack: false
    .vgpr_count:     29
    .vgpr_spill_count: 0
    .wavefront_size: 64
  - .args:
      - .offset:         0
        .size:           4
        .value_kind:     by_value
      - .offset:         4
        .size:           4
        .value_kind:     by_value
      - .address_space:  global
        .offset:         8
        .size:           8
        .value_kind:     global_buffer
      - .offset:         16
        .size:           8
        .value_kind:     by_value
      - .offset:         24
        .size:           4
        .value_kind:     by_value
      - .offset:         32
        .size:           8
        .value_kind:     by_value
      - .address_space:  global
        .offset:         40
        .size:           8
        .value_kind:     global_buffer
      - .offset:         48
        .size:           8
        .value_kind:     by_value
      - .address_space:  global
        .offset:         56
        .size:           8
        .value_kind:     global_buffer
      - .offset:         64
        .size:           8
        .value_kind:     by_value
      - .offset:         72
        .size:           4
        .value_kind:     by_value
      - .offset:         80
        .size:           8
        .value_kind:     by_value
    .group_segment_fixed_size: 40960
    .kernarg_segment_align: 8
    .kernarg_segment_size: 88
    .language:       OpenCL C
    .language_version:
      - 2
      - 0
    .max_flat_workgroup_size: 512
    .name:           _ZN9rocsolver6v33100L22larf_left_kernel_smallILi512E19rocblas_complex_numIdEiPKPS3_EEvT1_S7_T2_lS7_lPKT0_lS8_lS7_l
    .private_segment_fixed_size: 0
    .sgpr_count:     33
    .sgpr_spill_count: 0
    .symbol:         _ZN9rocsolver6v33100L22larf_left_kernel_smallILi512E19rocblas_complex_numIdEiPKPS3_EEvT1_S7_T2_lS7_lPKT0_lS8_lS7_l.kd
    .uniform_work_group_size: 1
    .uses_dynamic_stack: false
    .vgpr_count:     29
    .vgpr_spill_count: 0
    .wavefront_size: 64
  - .args:
      - .offset:         0
        .size:           4
        .value_kind:     by_value
      - .offset:         4
        .size:           4
        .value_kind:     by_value
      - .address_space:  global
        .offset:         8
        .size:           8
        .value_kind:     global_buffer
      - .offset:         16
        .size:           8
        .value_kind:     by_value
      - .offset:         24
        .size:           4
        .value_kind:     by_value
      - .offset:         32
        .size:           8
        .value_kind:     by_value
      - .address_space:  global
        .offset:         40
        .size:           8
        .value_kind:     global_buffer
      - .offset:         48
        .size:           8
        .value_kind:     by_value
      - .address_space:  global
        .offset:         56
        .size:           8
        .value_kind:     global_buffer
      - .offset:         64
        .size:           8
        .value_kind:     by_value
      - .offset:         72
        .size:           4
        .value_kind:     by_value
      - .offset:         80
        .size:           8
        .value_kind:     by_value
    .group_segment_fixed_size: 49152
    .kernarg_segment_align: 8
    .kernarg_segment_size: 88
    .language:       OpenCL C
    .language_version:
      - 2
      - 0
    .max_flat_workgroup_size: 1024
    .name:           _ZN9rocsolver6v33100L22larf_left_kernel_smallILi1024E19rocblas_complex_numIdEiPKPS3_EEvT1_S7_T2_lS7_lPKT0_lS8_lS7_l
    .private_segment_fixed_size: 0
    .sgpr_count:     33
    .sgpr_spill_count: 0
    .symbol:         _ZN9rocsolver6v33100L22larf_left_kernel_smallILi1024E19rocblas_complex_numIdEiPKPS3_EEvT1_S7_T2_lS7_lPKT0_lS8_lS7_l.kd
    .uniform_work_group_size: 1
    .uses_dynamic_stack: false
    .vgpr_count:     29
    .vgpr_spill_count: 0
    .wavefront_size: 64
  - .args:
      - .offset:         0
        .size:           4
        .value_kind:     by_value
      - .offset:         4
        .size:           4
        .value_kind:     by_value
      - .address_space:  global
        .offset:         8
        .size:           8
        .value_kind:     global_buffer
      - .offset:         16
        .size:           8
        .value_kind:     by_value
      - .offset:         24
        .size:           4
        .value_kind:     by_value
      - .offset:         32
        .size:           8
        .value_kind:     by_value
      - .address_space:  global
        .offset:         40
        .size:           8
        .value_kind:     global_buffer
      - .offset:         48
        .size:           8
        .value_kind:     by_value
      - .address_space:  global
        .offset:         56
        .size:           8
        .value_kind:     global_buffer
      - .offset:         64
        .size:           8
        .value_kind:     by_value
      - .offset:         72
        .size:           4
        .value_kind:     by_value
      - .offset:         80
        .size:           8
        .value_kind:     by_value
    .group_segment_fixed_size: 32784
    .kernarg_segment_align: 8
    .kernarg_segment_size: 88
    .language:       OpenCL C
    .language_version:
      - 2
      - 0
    .max_flat_workgroup_size: 64
    .name:           _ZN9rocsolver6v33100L23larf_right_kernel_smallILi64E19rocblas_complex_numIdEiPKPS3_EEvT1_S7_T2_lS7_lPKT0_lS8_lS7_l
    .private_segment_fixed_size: 0
    .sgpr_count:     33
    .sgpr_spill_count: 0
    .symbol:         _ZN9rocsolver6v33100L23larf_right_kernel_smallILi64E19rocblas_complex_numIdEiPKPS3_EEvT1_S7_T2_lS7_lPKT0_lS8_lS7_l.kd
    .uniform_work_group_size: 1
    .uses_dynamic_stack: false
    .vgpr_count:     29
    .vgpr_spill_count: 0
    .wavefront_size: 64
  - .args:
      - .offset:         0
        .size:           4
        .value_kind:     by_value
      - .offset:         4
        .size:           4
        .value_kind:     by_value
      - .address_space:  global
        .offset:         8
        .size:           8
        .value_kind:     global_buffer
      - .offset:         16
        .size:           8
        .value_kind:     by_value
      - .offset:         24
        .size:           4
        .value_kind:     by_value
      - .offset:         32
        .size:           8
        .value_kind:     by_value
      - .address_space:  global
        .offset:         40
        .size:           8
        .value_kind:     global_buffer
      - .offset:         48
        .size:           8
        .value_kind:     by_value
      - .address_space:  global
        .offset:         56
        .size:           8
        .value_kind:     global_buffer
      - .offset:         64
        .size:           8
        .value_kind:     by_value
      - .offset:         72
        .size:           4
        .value_kind:     by_value
      - .offset:         80
        .size:           8
        .value_kind:     by_value
    .group_segment_fixed_size: 32800
    .kernarg_segment_align: 8
    .kernarg_segment_size: 88
    .language:       OpenCL C
    .language_version:
      - 2
      - 0
    .max_flat_workgroup_size: 128
    .name:           _ZN9rocsolver6v33100L23larf_right_kernel_smallILi128E19rocblas_complex_numIdEiPKPS3_EEvT1_S7_T2_lS7_lPKT0_lS8_lS7_l
    .private_segment_fixed_size: 0
    .sgpr_count:     33
    .sgpr_spill_count: 0
    .symbol:         _ZN9rocsolver6v33100L23larf_right_kernel_smallILi128E19rocblas_complex_numIdEiPKPS3_EEvT1_S7_T2_lS7_lPKT0_lS8_lS7_l.kd
    .uniform_work_group_size: 1
    .uses_dynamic_stack: false
    .vgpr_count:     30
    .vgpr_spill_count: 0
    .wavefront_size: 64
  - .args:
      - .offset:         0
        .size:           4
        .value_kind:     by_value
      - .offset:         4
        .size:           4
        .value_kind:     by_value
      - .address_space:  global
        .offset:         8
        .size:           8
        .value_kind:     global_buffer
      - .offset:         16
        .size:           8
        .value_kind:     by_value
      - .offset:         24
        .size:           4
        .value_kind:     by_value
      - .offset:         32
        .size:           8
        .value_kind:     by_value
      - .address_space:  global
        .offset:         40
        .size:           8
        .value_kind:     global_buffer
      - .offset:         48
        .size:           8
        .value_kind:     by_value
      - .address_space:  global
        .offset:         56
        .size:           8
        .value_kind:     global_buffer
      - .offset:         64
        .size:           8
        .value_kind:     by_value
      - .offset:         72
        .size:           4
        .value_kind:     by_value
      - .offset:         80
        .size:           8
        .value_kind:     by_value
    .group_segment_fixed_size: 32832
    .kernarg_segment_align: 8
    .kernarg_segment_size: 88
    .language:       OpenCL C
    .language_version:
      - 2
      - 0
    .max_flat_workgroup_size: 256
    .name:           _ZN9rocsolver6v33100L23larf_right_kernel_smallILi256E19rocblas_complex_numIdEiPKPS3_EEvT1_S7_T2_lS7_lPKT0_lS8_lS7_l
    .private_segment_fixed_size: 0
    .sgpr_count:     33
    .sgpr_spill_count: 0
    .symbol:         _ZN9rocsolver6v33100L23larf_right_kernel_smallILi256E19rocblas_complex_numIdEiPKPS3_EEvT1_S7_T2_lS7_lPKT0_lS8_lS7_l.kd
    .uniform_work_group_size: 1
    .uses_dynamic_stack: false
    .vgpr_count:     30
    .vgpr_spill_count: 0
    .wavefront_size: 64
  - .args:
      - .offset:         0
        .size:           4
        .value_kind:     by_value
      - .offset:         4
        .size:           4
        .value_kind:     by_value
      - .address_space:  global
        .offset:         8
        .size:           8
        .value_kind:     global_buffer
      - .offset:         16
        .size:           8
        .value_kind:     by_value
      - .offset:         24
        .size:           4
        .value_kind:     by_value
      - .offset:         32
        .size:           8
        .value_kind:     by_value
      - .address_space:  global
        .offset:         40
        .size:           8
        .value_kind:     global_buffer
      - .offset:         48
        .size:           8
        .value_kind:     by_value
      - .address_space:  global
        .offset:         56
        .size:           8
        .value_kind:     global_buffer
      - .offset:         64
        .size:           8
        .value_kind:     by_value
      - .offset:         72
        .size:           4
        .value_kind:     by_value
      - .offset:         80
        .size:           8
        .value_kind:     by_value
    .group_segment_fixed_size: 32896
    .kernarg_segment_align: 8
    .kernarg_segment_size: 88
    .language:       OpenCL C
    .language_version:
      - 2
      - 0
    .max_flat_workgroup_size: 512
    .name:           _ZN9rocsolver6v33100L23larf_right_kernel_smallILi512E19rocblas_complex_numIdEiPKPS3_EEvT1_S7_T2_lS7_lPKT0_lS8_lS7_l
    .private_segment_fixed_size: 0
    .sgpr_count:     33
    .sgpr_spill_count: 0
    .symbol:         _ZN9rocsolver6v33100L23larf_right_kernel_smallILi512E19rocblas_complex_numIdEiPKPS3_EEvT1_S7_T2_lS7_lPKT0_lS8_lS7_l.kd
    .uniform_work_group_size: 1
    .uses_dynamic_stack: false
    .vgpr_count:     28
    .vgpr_spill_count: 0
    .wavefront_size: 64
  - .args:
      - .offset:         0
        .size:           4
        .value_kind:     by_value
      - .offset:         4
        .size:           4
        .value_kind:     by_value
      - .address_space:  global
        .offset:         8
        .size:           8
        .value_kind:     global_buffer
      - .offset:         16
        .size:           8
        .value_kind:     by_value
      - .offset:         24
        .size:           4
        .value_kind:     by_value
      - .offset:         32
        .size:           8
        .value_kind:     by_value
      - .address_space:  global
        .offset:         40
        .size:           8
        .value_kind:     global_buffer
      - .offset:         48
        .size:           8
        .value_kind:     by_value
      - .address_space:  global
        .offset:         56
        .size:           8
        .value_kind:     global_buffer
      - .offset:         64
        .size:           8
        .value_kind:     by_value
      - .offset:         72
        .size:           4
        .value_kind:     by_value
      - .offset:         80
        .size:           8
        .value_kind:     by_value
    .group_segment_fixed_size: 33024
    .kernarg_segment_align: 8
    .kernarg_segment_size: 88
    .language:       OpenCL C
    .language_version:
      - 2
      - 0
    .max_flat_workgroup_size: 1024
    .name:           _ZN9rocsolver6v33100L23larf_right_kernel_smallILi1024E19rocblas_complex_numIdEiPKPS3_EEvT1_S7_T2_lS7_lPKT0_lS8_lS7_l
    .private_segment_fixed_size: 0
    .sgpr_count:     33
    .sgpr_spill_count: 0
    .symbol:         _ZN9rocsolver6v33100L23larf_right_kernel_smallILi1024E19rocblas_complex_numIdEiPKPS3_EEvT1_S7_T2_lS7_lPKT0_lS8_lS7_l.kd
    .uniform_work_group_size: 1
    .uses_dynamic_stack: false
    .vgpr_count:     28
    .vgpr_spill_count: 0
    .wavefront_size: 64
  - .args:
      - .offset:         0
        .size:           8
        .value_kind:     by_value
      - .offset:         8
        .size:           8
        .value_kind:     by_value
      - .address_space:  global
        .offset:         16
        .size:           8
        .value_kind:     global_buffer
      - .offset:         24
        .size:           8
        .value_kind:     by_value
      - .offset:         32
        .size:           8
        .value_kind:     by_value
      - .offset:         40
        .size:           8
        .value_kind:     by_value
      - .address_space:  global
        .offset:         48
        .size:           8
        .value_kind:     global_buffer
      - .offset:         56
        .size:           8
        .value_kind:     by_value
      - .address_space:  global
        .offset:         64
        .size:           8
        .value_kind:     global_buffer
      - .offset:         72
        .size:           8
        .value_kind:     by_value
      - .offset:         80
        .size:           8
        .value_kind:     by_value
      - .offset:         88
        .size:           8
        .value_kind:     by_value
    .group_segment_fixed_size: 33792
    .kernarg_segment_align: 8
    .kernarg_segment_size: 96
    .language:       OpenCL C
    .language_version:
      - 2
      - 0
    .max_flat_workgroup_size: 64
    .name:           _ZN9rocsolver6v33100L22larf_left_kernel_smallILi64E19rocblas_complex_numIdElPS3_EEvT1_S5_T2_lS5_lPKT0_lS6_lS5_l
    .private_segment_fixed_size: 0
    .sgpr_count:     34
    .sgpr_spill_count: 0
    .symbol:         _ZN9rocsolver6v33100L22larf_left_kernel_smallILi64E19rocblas_complex_numIdElPS3_EEvT1_S5_T2_lS5_lPKT0_lS6_lS5_l.kd
    .uniform_work_group_size: 1
    .uses_dynamic_stack: false
    .vgpr_count:     32
    .vgpr_spill_count: 0
    .wavefront_size: 64
  - .args:
      - .offset:         0
        .size:           8
        .value_kind:     by_value
      - .offset:         8
        .size:           8
        .value_kind:     by_value
      - .address_space:  global
        .offset:         16
        .size:           8
        .value_kind:     global_buffer
      - .offset:         24
        .size:           8
        .value_kind:     by_value
      - .offset:         32
        .size:           8
        .value_kind:     by_value
      - .offset:         40
        .size:           8
        .value_kind:     by_value
      - .address_space:  global
        .offset:         48
        .size:           8
        .value_kind:     global_buffer
      - .offset:         56
        .size:           8
        .value_kind:     by_value
      - .address_space:  global
        .offset:         64
        .size:           8
        .value_kind:     global_buffer
      - .offset:         72
        .size:           8
        .value_kind:     by_value
      - .offset:         80
        .size:           8
        .value_kind:     by_value
      - .offset:         88
        .size:           8
        .value_kind:     by_value
    .group_segment_fixed_size: 34816
    .kernarg_segment_align: 8
    .kernarg_segment_size: 96
    .language:       OpenCL C
    .language_version:
      - 2
      - 0
    .max_flat_workgroup_size: 128
    .name:           _ZN9rocsolver6v33100L22larf_left_kernel_smallILi128E19rocblas_complex_numIdElPS3_EEvT1_S5_T2_lS5_lPKT0_lS6_lS5_l
    .private_segment_fixed_size: 0
    .sgpr_count:     34
    .sgpr_spill_count: 0
    .symbol:         _ZN9rocsolver6v33100L22larf_left_kernel_smallILi128E19rocblas_complex_numIdElPS3_EEvT1_S5_T2_lS5_lPKT0_lS6_lS5_l.kd
    .uniform_work_group_size: 1
    .uses_dynamic_stack: false
    .vgpr_count:     33
    .vgpr_spill_count: 0
    .wavefront_size: 64
  - .args:
      - .offset:         0
        .size:           8
        .value_kind:     by_value
      - .offset:         8
        .size:           8
        .value_kind:     by_value
      - .address_space:  global
        .offset:         16
        .size:           8
        .value_kind:     global_buffer
      - .offset:         24
        .size:           8
        .value_kind:     by_value
      - .offset:         32
        .size:           8
        .value_kind:     by_value
      - .offset:         40
        .size:           8
        .value_kind:     by_value
      - .address_space:  global
        .offset:         48
        .size:           8
        .value_kind:     global_buffer
      - .offset:         56
        .size:           8
        .value_kind:     by_value
      - .address_space:  global
        .offset:         64
        .size:           8
        .value_kind:     global_buffer
      - .offset:         72
        .size:           8
        .value_kind:     by_value
      - .offset:         80
        .size:           8
        .value_kind:     by_value
      - .offset:         88
        .size:           8
        .value_kind:     by_value
    .group_segment_fixed_size: 36864
    .kernarg_segment_align: 8
    .kernarg_segment_size: 96
    .language:       OpenCL C
    .language_version:
      - 2
      - 0
    .max_flat_workgroup_size: 256
    .name:           _ZN9rocsolver6v33100L22larf_left_kernel_smallILi256E19rocblas_complex_numIdElPS3_EEvT1_S5_T2_lS5_lPKT0_lS6_lS5_l
    .private_segment_fixed_size: 0
    .sgpr_count:     34
    .sgpr_spill_count: 0
    .symbol:         _ZN9rocsolver6v33100L22larf_left_kernel_smallILi256E19rocblas_complex_numIdElPS3_EEvT1_S5_T2_lS5_lPKT0_lS6_lS5_l.kd
    .uniform_work_group_size: 1
    .uses_dynamic_stack: false
    .vgpr_count:     33
    .vgpr_spill_count: 0
    .wavefront_size: 64
  - .args:
      - .offset:         0
        .size:           8
        .value_kind:     by_value
      - .offset:         8
        .size:           8
        .value_kind:     by_value
      - .address_space:  global
        .offset:         16
        .size:           8
        .value_kind:     global_buffer
      - .offset:         24
        .size:           8
        .value_kind:     by_value
      - .offset:         32
        .size:           8
        .value_kind:     by_value
      - .offset:         40
        .size:           8
        .value_kind:     by_value
      - .address_space:  global
        .offset:         48
        .size:           8
        .value_kind:     global_buffer
      - .offset:         56
        .size:           8
        .value_kind:     by_value
      - .address_space:  global
        .offset:         64
        .size:           8
        .value_kind:     global_buffer
      - .offset:         72
        .size:           8
        .value_kind:     by_value
      - .offset:         80
        .size:           8
        .value_kind:     by_value
      - .offset:         88
        .size:           8
        .value_kind:     by_value
    .group_segment_fixed_size: 40960
    .kernarg_segment_align: 8
    .kernarg_segment_size: 96
    .language:       OpenCL C
    .language_version:
      - 2
      - 0
    .max_flat_workgroup_size: 512
    .name:           _ZN9rocsolver6v33100L22larf_left_kernel_smallILi512E19rocblas_complex_numIdElPS3_EEvT1_S5_T2_lS5_lPKT0_lS6_lS5_l
    .private_segment_fixed_size: 0
    .sgpr_count:     34
    .sgpr_spill_count: 0
    .symbol:         _ZN9rocsolver6v33100L22larf_left_kernel_smallILi512E19rocblas_complex_numIdElPS3_EEvT1_S5_T2_lS5_lPKT0_lS6_lS5_l.kd
    .uniform_work_group_size: 1
    .uses_dynamic_stack: false
    .vgpr_count:     30
    .vgpr_spill_count: 0
    .wavefront_size: 64
  - .args:
      - .offset:         0
        .size:           8
        .value_kind:     by_value
      - .offset:         8
        .size:           8
        .value_kind:     by_value
      - .address_space:  global
        .offset:         16
        .size:           8
        .value_kind:     global_buffer
      - .offset:         24
        .size:           8
        .value_kind:     by_value
      - .offset:         32
        .size:           8
        .value_kind:     by_value
      - .offset:         40
        .size:           8
        .value_kind:     by_value
      - .address_space:  global
        .offset:         48
        .size:           8
        .value_kind:     global_buffer
      - .offset:         56
        .size:           8
        .value_kind:     by_value
      - .address_space:  global
        .offset:         64
        .size:           8
        .value_kind:     global_buffer
      - .offset:         72
        .size:           8
        .value_kind:     by_value
      - .offset:         80
        .size:           8
        .value_kind:     by_value
      - .offset:         88
        .size:           8
        .value_kind:     by_value
    .group_segment_fixed_size: 49152
    .kernarg_segment_align: 8
    .kernarg_segment_size: 96
    .language:       OpenCL C
    .language_version:
      - 2
      - 0
    .max_flat_workgroup_size: 1024
    .name:           _ZN9rocsolver6v33100L22larf_left_kernel_smallILi1024E19rocblas_complex_numIdElPS3_EEvT1_S5_T2_lS5_lPKT0_lS6_lS5_l
    .private_segment_fixed_size: 0
    .sgpr_count:     34
    .sgpr_spill_count: 0
    .symbol:         _ZN9rocsolver6v33100L22larf_left_kernel_smallILi1024E19rocblas_complex_numIdElPS3_EEvT1_S5_T2_lS5_lPKT0_lS6_lS5_l.kd
    .uniform_work_group_size: 1
    .uses_dynamic_stack: false
    .vgpr_count:     30
    .vgpr_spill_count: 0
    .wavefront_size: 64
  - .args:
      - .offset:         0
        .size:           8
        .value_kind:     by_value
      - .offset:         8
        .size:           8
        .value_kind:     by_value
      - .address_space:  global
        .offset:         16
        .size:           8
        .value_kind:     global_buffer
      - .offset:         24
        .size:           8
        .value_kind:     by_value
      - .offset:         32
        .size:           8
        .value_kind:     by_value
      - .offset:         40
        .size:           8
        .value_kind:     by_value
      - .address_space:  global
        .offset:         48
        .size:           8
        .value_kind:     global_buffer
      - .offset:         56
        .size:           8
        .value_kind:     by_value
      - .address_space:  global
        .offset:         64
        .size:           8
        .value_kind:     global_buffer
      - .offset:         72
        .size:           8
        .value_kind:     by_value
      - .offset:         80
        .size:           8
        .value_kind:     by_value
      - .offset:         88
        .size:           8
        .value_kind:     by_value
    .group_segment_fixed_size: 32784
    .kernarg_segment_align: 8
    .kernarg_segment_size: 96
    .language:       OpenCL C
    .language_version:
      - 2
      - 0
    .max_flat_workgroup_size: 64
    .name:           _ZN9rocsolver6v33100L23larf_right_kernel_smallILi64E19rocblas_complex_numIdElPS3_EEvT1_S5_T2_lS5_lPKT0_lS6_lS5_l
    .private_segment_fixed_size: 0
    .sgpr_count:     36
    .sgpr_spill_count: 0
    .symbol:         _ZN9rocsolver6v33100L23larf_right_kernel_smallILi64E19rocblas_complex_numIdElPS3_EEvT1_S5_T2_lS5_lPKT0_lS6_lS5_l.kd
    .uniform_work_group_size: 1
    .uses_dynamic_stack: false
    .vgpr_count:     32
    .vgpr_spill_count: 0
    .wavefront_size: 64
  - .args:
      - .offset:         0
        .size:           8
        .value_kind:     by_value
      - .offset:         8
        .size:           8
        .value_kind:     by_value
      - .address_space:  global
        .offset:         16
        .size:           8
        .value_kind:     global_buffer
      - .offset:         24
        .size:           8
        .value_kind:     by_value
      - .offset:         32
        .size:           8
        .value_kind:     by_value
      - .offset:         40
        .size:           8
        .value_kind:     by_value
      - .address_space:  global
        .offset:         48
        .size:           8
        .value_kind:     global_buffer
      - .offset:         56
        .size:           8
        .value_kind:     by_value
      - .address_space:  global
        .offset:         64
        .size:           8
        .value_kind:     global_buffer
      - .offset:         72
        .size:           8
        .value_kind:     by_value
      - .offset:         80
        .size:           8
        .value_kind:     by_value
      - .offset:         88
        .size:           8
        .value_kind:     by_value
    .group_segment_fixed_size: 32800
    .kernarg_segment_align: 8
    .kernarg_segment_size: 96
    .language:       OpenCL C
    .language_version:
      - 2
      - 0
    .max_flat_workgroup_size: 128
    .name:           _ZN9rocsolver6v33100L23larf_right_kernel_smallILi128E19rocblas_complex_numIdElPS3_EEvT1_S5_T2_lS5_lPKT0_lS6_lS5_l
    .private_segment_fixed_size: 0
    .sgpr_count:     36
    .sgpr_spill_count: 0
    .symbol:         _ZN9rocsolver6v33100L23larf_right_kernel_smallILi128E19rocblas_complex_numIdElPS3_EEvT1_S5_T2_lS5_lPKT0_lS6_lS5_l.kd
    .uniform_work_group_size: 1
    .uses_dynamic_stack: false
    .vgpr_count:     33
    .vgpr_spill_count: 0
    .wavefront_size: 64
  - .args:
      - .offset:         0
        .size:           8
        .value_kind:     by_value
      - .offset:         8
        .size:           8
        .value_kind:     by_value
      - .address_space:  global
        .offset:         16
        .size:           8
        .value_kind:     global_buffer
      - .offset:         24
        .size:           8
        .value_kind:     by_value
      - .offset:         32
        .size:           8
        .value_kind:     by_value
      - .offset:         40
        .size:           8
        .value_kind:     by_value
      - .address_space:  global
        .offset:         48
        .size:           8
        .value_kind:     global_buffer
      - .offset:         56
        .size:           8
        .value_kind:     by_value
      - .address_space:  global
        .offset:         64
        .size:           8
        .value_kind:     global_buffer
      - .offset:         72
        .size:           8
        .value_kind:     by_value
      - .offset:         80
        .size:           8
        .value_kind:     by_value
      - .offset:         88
        .size:           8
        .value_kind:     by_value
    .group_segment_fixed_size: 32832
    .kernarg_segment_align: 8
    .kernarg_segment_size: 96
    .language:       OpenCL C
    .language_version:
      - 2
      - 0
    .max_flat_workgroup_size: 256
    .name:           _ZN9rocsolver6v33100L23larf_right_kernel_smallILi256E19rocblas_complex_numIdElPS3_EEvT1_S5_T2_lS5_lPKT0_lS6_lS5_l
    .private_segment_fixed_size: 0
    .sgpr_count:     36
    .sgpr_spill_count: 0
    .symbol:         _ZN9rocsolver6v33100L23larf_right_kernel_smallILi256E19rocblas_complex_numIdElPS3_EEvT1_S5_T2_lS5_lPKT0_lS6_lS5_l.kd
    .uniform_work_group_size: 1
    .uses_dynamic_stack: false
    .vgpr_count:     33
    .vgpr_spill_count: 0
    .wavefront_size: 64
  - .args:
      - .offset:         0
        .size:           8
        .value_kind:     by_value
      - .offset:         8
        .size:           8
        .value_kind:     by_value
      - .address_space:  global
        .offset:         16
        .size:           8
        .value_kind:     global_buffer
      - .offset:         24
        .size:           8
        .value_kind:     by_value
      - .offset:         32
        .size:           8
        .value_kind:     by_value
      - .offset:         40
        .size:           8
        .value_kind:     by_value
      - .address_space:  global
        .offset:         48
        .size:           8
        .value_kind:     global_buffer
      - .offset:         56
        .size:           8
        .value_kind:     by_value
      - .address_space:  global
        .offset:         64
        .size:           8
        .value_kind:     global_buffer
      - .offset:         72
        .size:           8
        .value_kind:     by_value
      - .offset:         80
        .size:           8
        .value_kind:     by_value
      - .offset:         88
        .size:           8
        .value_kind:     by_value
    .group_segment_fixed_size: 32896
    .kernarg_segment_align: 8
    .kernarg_segment_size: 96
    .language:       OpenCL C
    .language_version:
      - 2
      - 0
    .max_flat_workgroup_size: 512
    .name:           _ZN9rocsolver6v33100L23larf_right_kernel_smallILi512E19rocblas_complex_numIdElPS3_EEvT1_S5_T2_lS5_lPKT0_lS6_lS5_l
    .private_segment_fixed_size: 0
    .sgpr_count:     36
    .sgpr_spill_count: 0
    .symbol:         _ZN9rocsolver6v33100L23larf_right_kernel_smallILi512E19rocblas_complex_numIdElPS3_EEvT1_S5_T2_lS5_lPKT0_lS6_lS5_l.kd
    .uniform_work_group_size: 1
    .uses_dynamic_stack: false
    .vgpr_count:     31
    .vgpr_spill_count: 0
    .wavefront_size: 64
  - .args:
      - .offset:         0
        .size:           8
        .value_kind:     by_value
      - .offset:         8
        .size:           8
        .value_kind:     by_value
      - .address_space:  global
        .offset:         16
        .size:           8
        .value_kind:     global_buffer
      - .offset:         24
        .size:           8
        .value_kind:     by_value
      - .offset:         32
        .size:           8
        .value_kind:     by_value
      - .offset:         40
        .size:           8
        .value_kind:     by_value
      - .address_space:  global
        .offset:         48
        .size:           8
        .value_kind:     global_buffer
      - .offset:         56
        .size:           8
        .value_kind:     by_value
      - .address_space:  global
        .offset:         64
        .size:           8
        .value_kind:     global_buffer
      - .offset:         72
        .size:           8
        .value_kind:     by_value
      - .offset:         80
        .size:           8
        .value_kind:     by_value
      - .offset:         88
        .size:           8
        .value_kind:     by_value
    .group_segment_fixed_size: 33024
    .kernarg_segment_align: 8
    .kernarg_segment_size: 96
    .language:       OpenCL C
    .language_version:
      - 2
      - 0
    .max_flat_workgroup_size: 1024
    .name:           _ZN9rocsolver6v33100L23larf_right_kernel_smallILi1024E19rocblas_complex_numIdElPS3_EEvT1_S5_T2_lS5_lPKT0_lS6_lS5_l
    .private_segment_fixed_size: 0
    .sgpr_count:     36
    .sgpr_spill_count: 0
    .symbol:         _ZN9rocsolver6v33100L23larf_right_kernel_smallILi1024E19rocblas_complex_numIdElPS3_EEvT1_S5_T2_lS5_lPKT0_lS6_lS5_l.kd
    .uniform_work_group_size: 1
    .uses_dynamic_stack: false
    .vgpr_count:     31
    .vgpr_spill_count: 0
    .wavefront_size: 64
  - .args:
      - .offset:         0
        .size:           8
        .value_kind:     by_value
      - .offset:         8
        .size:           8
        .value_kind:     by_value
      - .address_space:  global
        .offset:         16
        .size:           8
        .value_kind:     global_buffer
      - .offset:         24
        .size:           8
        .value_kind:     by_value
      - .offset:         32
        .size:           8
        .value_kind:     by_value
      - .offset:         40
        .size:           8
        .value_kind:     by_value
      - .address_space:  global
        .offset:         48
        .size:           8
        .value_kind:     global_buffer
      - .offset:         56
        .size:           8
        .value_kind:     by_value
      - .address_space:  global
        .offset:         64
        .size:           8
        .value_kind:     global_buffer
      - .offset:         72
        .size:           8
        .value_kind:     by_value
      - .offset:         80
        .size:           8
        .value_kind:     by_value
      - .offset:         88
        .size:           8
        .value_kind:     by_value
    .group_segment_fixed_size: 33792
    .kernarg_segment_align: 8
    .kernarg_segment_size: 96
    .language:       OpenCL C
    .language_version:
      - 2
      - 0
    .max_flat_workgroup_size: 64
    .name:           _ZN9rocsolver6v33100L22larf_left_kernel_smallILi64E19rocblas_complex_numIdElPKPS3_EEvT1_S7_T2_lS7_lPKT0_lS8_lS7_l
    .private_segment_fixed_size: 0
    .sgpr_count:     36
    .sgpr_spill_count: 0
    .symbol:         _ZN9rocsolver6v33100L22larf_left_kernel_smallILi64E19rocblas_complex_numIdElPKPS3_EEvT1_S7_T2_lS7_lPKT0_lS8_lS7_l.kd
    .uniform_work_group_size: 1
    .uses_dynamic_stack: false
    .vgpr_count:     32
    .vgpr_spill_count: 0
    .wavefront_size: 64
  - .args:
      - .offset:         0
        .size:           8
        .value_kind:     by_value
      - .offset:         8
        .size:           8
        .value_kind:     by_value
      - .address_space:  global
        .offset:         16
        .size:           8
        .value_kind:     global_buffer
      - .offset:         24
        .size:           8
        .value_kind:     by_value
      - .offset:         32
        .size:           8
        .value_kind:     by_value
      - .offset:         40
        .size:           8
        .value_kind:     by_value
      - .address_space:  global
        .offset:         48
        .size:           8
        .value_kind:     global_buffer
      - .offset:         56
        .size:           8
        .value_kind:     by_value
      - .address_space:  global
        .offset:         64
        .size:           8
        .value_kind:     global_buffer
      - .offset:         72
        .size:           8
        .value_kind:     by_value
      - .offset:         80
        .size:           8
        .value_kind:     by_value
      - .offset:         88
        .size:           8
        .value_kind:     by_value
    .group_segment_fixed_size: 34816
    .kernarg_segment_align: 8
    .kernarg_segment_size: 96
    .language:       OpenCL C
    .language_version:
      - 2
      - 0
    .max_flat_workgroup_size: 128
    .name:           _ZN9rocsolver6v33100L22larf_left_kernel_smallILi128E19rocblas_complex_numIdElPKPS3_EEvT1_S7_T2_lS7_lPKT0_lS8_lS7_l
    .private_segment_fixed_size: 0
    .sgpr_count:     36
    .sgpr_spill_count: 0
    .symbol:         _ZN9rocsolver6v33100L22larf_left_kernel_smallILi128E19rocblas_complex_numIdElPKPS3_EEvT1_S7_T2_lS7_lPKT0_lS8_lS7_l.kd
    .uniform_work_group_size: 1
    .uses_dynamic_stack: false
    .vgpr_count:     33
    .vgpr_spill_count: 0
    .wavefront_size: 64
  - .args:
      - .offset:         0
        .size:           8
        .value_kind:     by_value
      - .offset:         8
        .size:           8
        .value_kind:     by_value
      - .address_space:  global
        .offset:         16
        .size:           8
        .value_kind:     global_buffer
      - .offset:         24
        .size:           8
        .value_kind:     by_value
      - .offset:         32
        .size:           8
        .value_kind:     by_value
      - .offset:         40
        .size:           8
        .value_kind:     by_value
      - .address_space:  global
        .offset:         48
        .size:           8
        .value_kind:     global_buffer
      - .offset:         56
        .size:           8
        .value_kind:     by_value
      - .address_space:  global
        .offset:         64
        .size:           8
        .value_kind:     global_buffer
      - .offset:         72
        .size:           8
        .value_kind:     by_value
      - .offset:         80
        .size:           8
        .value_kind:     by_value
      - .offset:         88
        .size:           8
        .value_kind:     by_value
    .group_segment_fixed_size: 36864
    .kernarg_segment_align: 8
    .kernarg_segment_size: 96
    .language:       OpenCL C
    .language_version:
      - 2
      - 0
    .max_flat_workgroup_size: 256
    .name:           _ZN9rocsolver6v33100L22larf_left_kernel_smallILi256E19rocblas_complex_numIdElPKPS3_EEvT1_S7_T2_lS7_lPKT0_lS8_lS7_l
    .private_segment_fixed_size: 0
    .sgpr_count:     36
    .sgpr_spill_count: 0
    .symbol:         _ZN9rocsolver6v33100L22larf_left_kernel_smallILi256E19rocblas_complex_numIdElPKPS3_EEvT1_S7_T2_lS7_lPKT0_lS8_lS7_l.kd
    .uniform_work_group_size: 1
    .uses_dynamic_stack: false
    .vgpr_count:     33
    .vgpr_spill_count: 0
    .wavefront_size: 64
  - .args:
      - .offset:         0
        .size:           8
        .value_kind:     by_value
      - .offset:         8
        .size:           8
        .value_kind:     by_value
      - .address_space:  global
        .offset:         16
        .size:           8
        .value_kind:     global_buffer
      - .offset:         24
        .size:           8
        .value_kind:     by_value
      - .offset:         32
        .size:           8
        .value_kind:     by_value
      - .offset:         40
        .size:           8
        .value_kind:     by_value
      - .address_space:  global
        .offset:         48
        .size:           8
        .value_kind:     global_buffer
      - .offset:         56
        .size:           8
        .value_kind:     by_value
      - .address_space:  global
        .offset:         64
        .size:           8
        .value_kind:     global_buffer
      - .offset:         72
        .size:           8
        .value_kind:     by_value
      - .offset:         80
        .size:           8
        .value_kind:     by_value
      - .offset:         88
        .size:           8
        .value_kind:     by_value
    .group_segment_fixed_size: 40960
    .kernarg_segment_align: 8
    .kernarg_segment_size: 96
    .language:       OpenCL C
    .language_version:
      - 2
      - 0
    .max_flat_workgroup_size: 512
    .name:           _ZN9rocsolver6v33100L22larf_left_kernel_smallILi512E19rocblas_complex_numIdElPKPS3_EEvT1_S7_T2_lS7_lPKT0_lS8_lS7_l
    .private_segment_fixed_size: 0
    .sgpr_count:     36
    .sgpr_spill_count: 0
    .symbol:         _ZN9rocsolver6v33100L22larf_left_kernel_smallILi512E19rocblas_complex_numIdElPKPS3_EEvT1_S7_T2_lS7_lPKT0_lS8_lS7_l.kd
    .uniform_work_group_size: 1
    .uses_dynamic_stack: false
    .vgpr_count:     30
    .vgpr_spill_count: 0
    .wavefront_size: 64
  - .args:
      - .offset:         0
        .size:           8
        .value_kind:     by_value
      - .offset:         8
        .size:           8
        .value_kind:     by_value
      - .address_space:  global
        .offset:         16
        .size:           8
        .value_kind:     global_buffer
      - .offset:         24
        .size:           8
        .value_kind:     by_value
      - .offset:         32
        .size:           8
        .value_kind:     by_value
      - .offset:         40
        .size:           8
        .value_kind:     by_value
      - .address_space:  global
        .offset:         48
        .size:           8
        .value_kind:     global_buffer
      - .offset:         56
        .size:           8
        .value_kind:     by_value
      - .address_space:  global
        .offset:         64
        .size:           8
        .value_kind:     global_buffer
      - .offset:         72
        .size:           8
        .value_kind:     by_value
      - .offset:         80
        .size:           8
        .value_kind:     by_value
      - .offset:         88
        .size:           8
        .value_kind:     by_value
    .group_segment_fixed_size: 49152
    .kernarg_segment_align: 8
    .kernarg_segment_size: 96
    .language:       OpenCL C
    .language_version:
      - 2
      - 0
    .max_flat_workgroup_size: 1024
    .name:           _ZN9rocsolver6v33100L22larf_left_kernel_smallILi1024E19rocblas_complex_numIdElPKPS3_EEvT1_S7_T2_lS7_lPKT0_lS8_lS7_l
    .private_segment_fixed_size: 0
    .sgpr_count:     36
    .sgpr_spill_count: 0
    .symbol:         _ZN9rocsolver6v33100L22larf_left_kernel_smallILi1024E19rocblas_complex_numIdElPKPS3_EEvT1_S7_T2_lS7_lPKT0_lS8_lS7_l.kd
    .uniform_work_group_size: 1
    .uses_dynamic_stack: false
    .vgpr_count:     30
    .vgpr_spill_count: 0
    .wavefront_size: 64
  - .args:
      - .offset:         0
        .size:           8
        .value_kind:     by_value
      - .offset:         8
        .size:           8
        .value_kind:     by_value
      - .address_space:  global
        .offset:         16
        .size:           8
        .value_kind:     global_buffer
      - .offset:         24
        .size:           8
        .value_kind:     by_value
      - .offset:         32
        .size:           8
        .value_kind:     by_value
      - .offset:         40
        .size:           8
        .value_kind:     by_value
      - .address_space:  global
        .offset:         48
        .size:           8
        .value_kind:     global_buffer
      - .offset:         56
        .size:           8
        .value_kind:     by_value
      - .address_space:  global
        .offset:         64
        .size:           8
        .value_kind:     global_buffer
      - .offset:         72
        .size:           8
        .value_kind:     by_value
      - .offset:         80
        .size:           8
        .value_kind:     by_value
      - .offset:         88
        .size:           8
        .value_kind:     by_value
    .group_segment_fixed_size: 32784
    .kernarg_segment_align: 8
    .kernarg_segment_size: 96
    .language:       OpenCL C
    .language_version:
      - 2
      - 0
    .max_flat_workgroup_size: 64
    .name:           _ZN9rocsolver6v33100L23larf_right_kernel_smallILi64E19rocblas_complex_numIdElPKPS3_EEvT1_S7_T2_lS7_lPKT0_lS8_lS7_l
    .private_segment_fixed_size: 0
    .sgpr_count:     36
    .sgpr_spill_count: 0
    .symbol:         _ZN9rocsolver6v33100L23larf_right_kernel_smallILi64E19rocblas_complex_numIdElPKPS3_EEvT1_S7_T2_lS7_lPKT0_lS8_lS7_l.kd
    .uniform_work_group_size: 1
    .uses_dynamic_stack: false
    .vgpr_count:     32
    .vgpr_spill_count: 0
    .wavefront_size: 64
  - .args:
      - .offset:         0
        .size:           8
        .value_kind:     by_value
      - .offset:         8
        .size:           8
        .value_kind:     by_value
      - .address_space:  global
        .offset:         16
        .size:           8
        .value_kind:     global_buffer
      - .offset:         24
        .size:           8
        .value_kind:     by_value
      - .offset:         32
        .size:           8
        .value_kind:     by_value
      - .offset:         40
        .size:           8
        .value_kind:     by_value
      - .address_space:  global
        .offset:         48
        .size:           8
        .value_kind:     global_buffer
      - .offset:         56
        .size:           8
        .value_kind:     by_value
      - .address_space:  global
        .offset:         64
        .size:           8
        .value_kind:     global_buffer
      - .offset:         72
        .size:           8
        .value_kind:     by_value
      - .offset:         80
        .size:           8
        .value_kind:     by_value
      - .offset:         88
        .size:           8
        .value_kind:     by_value
    .group_segment_fixed_size: 32800
    .kernarg_segment_align: 8
    .kernarg_segment_size: 96
    .language:       OpenCL C
    .language_version:
      - 2
      - 0
    .max_flat_workgroup_size: 128
    .name:           _ZN9rocsolver6v33100L23larf_right_kernel_smallILi128E19rocblas_complex_numIdElPKPS3_EEvT1_S7_T2_lS7_lPKT0_lS8_lS7_l
    .private_segment_fixed_size: 0
    .sgpr_count:     36
    .sgpr_spill_count: 0
    .symbol:         _ZN9rocsolver6v33100L23larf_right_kernel_smallILi128E19rocblas_complex_numIdElPKPS3_EEvT1_S7_T2_lS7_lPKT0_lS8_lS7_l.kd
    .uniform_work_group_size: 1
    .uses_dynamic_stack: false
    .vgpr_count:     33
    .vgpr_spill_count: 0
    .wavefront_size: 64
  - .args:
      - .offset:         0
        .size:           8
        .value_kind:     by_value
      - .offset:         8
        .size:           8
        .value_kind:     by_value
      - .address_space:  global
        .offset:         16
        .size:           8
        .value_kind:     global_buffer
      - .offset:         24
        .size:           8
        .value_kind:     by_value
      - .offset:         32
        .size:           8
        .value_kind:     by_value
      - .offset:         40
        .size:           8
        .value_kind:     by_value
      - .address_space:  global
        .offset:         48
        .size:           8
        .value_kind:     global_buffer
      - .offset:         56
        .size:           8
        .value_kind:     by_value
      - .address_space:  global
        .offset:         64
        .size:           8
        .value_kind:     global_buffer
      - .offset:         72
        .size:           8
        .value_kind:     by_value
      - .offset:         80
        .size:           8
        .value_kind:     by_value
      - .offset:         88
        .size:           8
        .value_kind:     by_value
    .group_segment_fixed_size: 32832
    .kernarg_segment_align: 8
    .kernarg_segment_size: 96
    .language:       OpenCL C
    .language_version:
      - 2
      - 0
    .max_flat_workgroup_size: 256
    .name:           _ZN9rocsolver6v33100L23larf_right_kernel_smallILi256E19rocblas_complex_numIdElPKPS3_EEvT1_S7_T2_lS7_lPKT0_lS8_lS7_l
    .private_segment_fixed_size: 0
    .sgpr_count:     36
    .sgpr_spill_count: 0
    .symbol:         _ZN9rocsolver6v33100L23larf_right_kernel_smallILi256E19rocblas_complex_numIdElPKPS3_EEvT1_S7_T2_lS7_lPKT0_lS8_lS7_l.kd
    .uniform_work_group_size: 1
    .uses_dynamic_stack: false
    .vgpr_count:     33
    .vgpr_spill_count: 0
    .wavefront_size: 64
  - .args:
      - .offset:         0
        .size:           8
        .value_kind:     by_value
      - .offset:         8
        .size:           8
        .value_kind:     by_value
      - .address_space:  global
        .offset:         16
        .size:           8
        .value_kind:     global_buffer
      - .offset:         24
        .size:           8
        .value_kind:     by_value
      - .offset:         32
        .size:           8
        .value_kind:     by_value
      - .offset:         40
        .size:           8
        .value_kind:     by_value
      - .address_space:  global
        .offset:         48
        .size:           8
        .value_kind:     global_buffer
      - .offset:         56
        .size:           8
        .value_kind:     by_value
      - .address_space:  global
        .offset:         64
        .size:           8
        .value_kind:     global_buffer
      - .offset:         72
        .size:           8
        .value_kind:     by_value
      - .offset:         80
        .size:           8
        .value_kind:     by_value
      - .offset:         88
        .size:           8
        .value_kind:     by_value
    .group_segment_fixed_size: 32896
    .kernarg_segment_align: 8
    .kernarg_segment_size: 96
    .language:       OpenCL C
    .language_version:
      - 2
      - 0
    .max_flat_workgroup_size: 512
    .name:           _ZN9rocsolver6v33100L23larf_right_kernel_smallILi512E19rocblas_complex_numIdElPKPS3_EEvT1_S7_T2_lS7_lPKT0_lS8_lS7_l
    .private_segment_fixed_size: 0
    .sgpr_count:     36
    .sgpr_spill_count: 0
    .symbol:         _ZN9rocsolver6v33100L23larf_right_kernel_smallILi512E19rocblas_complex_numIdElPKPS3_EEvT1_S7_T2_lS7_lPKT0_lS8_lS7_l.kd
    .uniform_work_group_size: 1
    .uses_dynamic_stack: false
    .vgpr_count:     31
    .vgpr_spill_count: 0
    .wavefront_size: 64
  - .args:
      - .offset:         0
        .size:           8
        .value_kind:     by_value
      - .offset:         8
        .size:           8
        .value_kind:     by_value
      - .address_space:  global
        .offset:         16
        .size:           8
        .value_kind:     global_buffer
      - .offset:         24
        .size:           8
        .value_kind:     by_value
      - .offset:         32
        .size:           8
        .value_kind:     by_value
      - .offset:         40
        .size:           8
        .value_kind:     by_value
      - .address_space:  global
        .offset:         48
        .size:           8
        .value_kind:     global_buffer
      - .offset:         56
        .size:           8
        .value_kind:     by_value
      - .address_space:  global
        .offset:         64
        .size:           8
        .value_kind:     global_buffer
      - .offset:         72
        .size:           8
        .value_kind:     by_value
      - .offset:         80
        .size:           8
        .value_kind:     by_value
      - .offset:         88
        .size:           8
        .value_kind:     by_value
    .group_segment_fixed_size: 33024
    .kernarg_segment_align: 8
    .kernarg_segment_size: 96
    .language:       OpenCL C
    .language_version:
      - 2
      - 0
    .max_flat_workgroup_size: 1024
    .name:           _ZN9rocsolver6v33100L23larf_right_kernel_smallILi1024E19rocblas_complex_numIdElPKPS3_EEvT1_S7_T2_lS7_lPKT0_lS8_lS7_l
    .private_segment_fixed_size: 0
    .sgpr_count:     36
    .sgpr_spill_count: 0
    .symbol:         _ZN9rocsolver6v33100L23larf_right_kernel_smallILi1024E19rocblas_complex_numIdElPKPS3_EEvT1_S7_T2_lS7_lPKT0_lS8_lS7_l.kd
    .uniform_work_group_size: 1
    .uses_dynamic_stack: false
    .vgpr_count:     31
    .vgpr_spill_count: 0
    .wavefront_size: 64
amdhsa.target:   amdgcn-amd-amdhsa--gfx906
amdhsa.version:
  - 1
  - 2
...

	.end_amdgpu_metadata
